;; amdgpu-corpus repo=ROCm/rocFFT kind=compiled arch=gfx950 opt=O3
	.text
	.amdgcn_target "amdgcn-amd-amdhsa--gfx950"
	.amdhsa_code_object_version 6
	.protected	bluestein_single_back_len221_dim1_sp_op_CI_CI ; -- Begin function bluestein_single_back_len221_dim1_sp_op_CI_CI
	.globl	bluestein_single_back_len221_dim1_sp_op_CI_CI
	.p2align	8
	.type	bluestein_single_back_len221_dim1_sp_op_CI_CI,@function
bluestein_single_back_len221_dim1_sp_op_CI_CI: ; @bluestein_single_back_len221_dim1_sp_op_CI_CI
; %bb.0:
	s_load_dwordx4 s[8:11], s[0:1], 0x28
	v_mul_u32_u24_e32 v1, 0xf10, v0
	v_lshrrev_b32_e32 v2, 16, v1
	v_mad_u64_u32 v[212:213], s[2:3], s2, 7, v[2:3]
	v_mov_b32_e32 v213, 0
	s_waitcnt lgkmcnt(0)
	v_cmp_gt_u64_e32 vcc, s[8:9], v[212:213]
	s_and_saveexec_b64 s[2:3], vcc
	s_cbranch_execz .LBB0_15
; %bb.1:
	v_mul_lo_u16_e32 v1, 17, v2
	s_mov_b32 s2, 0x24924925
	v_sub_u16_e32 v210, v0, v1
	v_mul_hi_u32 v0, v212, s2
	v_sub_u32_e32 v1, v212, v0
	v_lshrrev_b32_e32 v1, 1, v1
	v_add_u32_e32 v0, v1, v0
	s_load_dwordx2 s[8:9], s[0:1], 0x0
	s_load_dwordx2 s[12:13], s[0:1], 0x38
	v_lshrrev_b32_e32 v0, 2, v0
	v_mul_lo_u32 v0, v0, 7
	v_sub_u32_e32 v0, v212, v0
	v_mul_u32_u24_e32 v207, 0xdd, v0
	v_cmp_gt_u16_e32 vcc, 13, v210
	v_lshlrev_b32_e32 v220, 3, v210
	v_lshlrev_b32_e32 v206, 3, v207
	s_and_saveexec_b64 s[2:3], vcc
	s_cbranch_execz .LBB0_3
; %bb.2:
	s_load_dwordx2 s[4:5], s[0:1], 0x18
	v_mov_b32_e32 v0, s10
	v_mov_b32_e32 v1, s11
	;; [unrolled: 1-line block ×3, first 2 shown]
	v_or_b32_e32 v37, 0xd0, v210
	s_waitcnt lgkmcnt(0)
	s_load_dwordx4 s[4:7], s[4:5], 0x0
	s_waitcnt lgkmcnt(0)
	v_mad_u64_u32 v[2:3], s[10:11], s6, v212, 0
	v_mad_u64_u32 v[4:5], s[10:11], s4, v210, 0
	v_mov_b32_e32 v6, v3
	v_mov_b32_e32 v8, v5
	v_mad_u64_u32 v[6:7], s[6:7], s7, v212, v[6:7]
	v_mov_b32_e32 v3, v6
	v_mad_u64_u32 v[6:7], s[6:7], s5, v210, v[8:9]
	v_mov_b32_e32 v5, v6
	v_lshl_add_u64 v[2:3], v[2:3], 3, v[0:1]
	v_lshl_add_u64 v[4:5], v[4:5], 3, v[2:3]
	v_mad_u64_u32 v[6:7], s[6:7], s4, v58, v[4:5]
	s_mul_i32 s6, s5, 0x68
	s_nop 0
	v_add_u32_e32 v7, s6, v7
	v_mad_u64_u32 v[14:15], s[10:11], s4, v58, v[6:7]
	v_add_u32_e32 v15, s6, v15
	global_load_dwordx2 v[0:1], v[4:5], off
	v_mad_u64_u32 v[34:35], s[10:11], s4, v37, 0
	global_load_dwordx2 v[4:5], v[6:7], off
	global_load_dwordx2 v[10:11], v220, s[8:9]
	s_nop 0
	global_load_dwordx2 v[6:7], v220, s[8:9] offset:104
	global_load_dwordx2 v[8:9], v220, s[8:9] offset:208
	;; [unrolled: 1-line block ×11, first 2 shown]
	global_load_dwordx2 v[32:33], v[14:15], off
	v_mad_u64_u32 v[14:15], s[10:11], s4, v58, v[14:15]
	v_add_u32_e32 v15, s6, v15
	global_load_dwordx2 v[38:39], v[14:15], off
	v_mad_u64_u32 v[14:15], s[10:11], s4, v58, v[14:15]
	v_add_u32_e32 v15, s6, v15
	;; [unrolled: 3-line block ×10, first 2 shown]
	global_load_dwordx2 v[56:57], v[14:15], off
	global_load_dwordx2 v[60:61], v220, s[8:9] offset:1248
	v_mad_u64_u32 v[14:15], s[10:11], s4, v58, v[14:15]
	v_add_u32_e32 v15, s6, v15
	v_mov_b32_e32 v36, v35
	global_load_dwordx2 v[62:63], v[14:15], off
	global_load_dwordx2 v[64:65], v220, s[8:9] offset:1352
	v_mad_u64_u32 v[14:15], s[10:11], s4, v58, v[14:15]
	v_mad_u64_u32 v[36:37], s[10:11], s5, v37, v[36:37]
	v_add_u32_e32 v15, s6, v15
	global_load_dwordx2 v[66:67], v[14:15], off
	global_load_dwordx2 v[68:69], v220, s[8:9] offset:1456
	v_mad_u64_u32 v[14:15], s[4:5], s4, v58, v[14:15]
	v_mov_b32_e32 v35, v36
	v_add_u32_e32 v15, s6, v15
	v_lshl_add_u64 v[2:3], v[34:35], 3, v[2:3]
	global_load_dwordx2 v[70:71], v[14:15], off
	global_load_dwordx2 v[72:73], v220, s[8:9] offset:1560
	s_nop 0
	global_load_dwordx2 v[14:15], v[2:3], off
	global_load_dwordx2 v[34:35], v220, s[8:9] offset:1664
	s_waitcnt vmcnt(31)
	v_mul_f32_e32 v2, v1, v11
	v_mul_f32_e32 v3, v0, v11
	v_fmac_f32_e32 v2, v0, v10
	v_fma_f32 v3, v1, v10, -v3
	s_waitcnt vmcnt(30)
	v_mul_f32_e32 v0, v5, v7
	v_mul_f32_e32 v1, v4, v7
	v_fmac_f32_e32 v0, v4, v6
	v_fma_f32 v1, v5, v6, -v1
	s_waitcnt vmcnt(19)
	v_mul_f32_e32 v4, v33, v9
	v_mul_f32_e32 v5, v32, v9
	v_lshl_add_u32 v6, v210, 3, v206
	v_fmac_f32_e32 v4, v32, v8
	v_fma_f32 v5, v33, v8, -v5
	ds_write_b64 v6, v[2:3]
	v_add_u32_e32 v6, v206, v220
	ds_write2_b64 v6, v[0:1], v[4:5] offset0:13 offset1:26
	s_waitcnt vmcnt(18)
	v_mul_f32_e32 v0, v39, v13
	v_mul_f32_e32 v1, v38, v13
	s_waitcnt vmcnt(17)
	v_mul_f32_e32 v2, v41, v17
	v_mul_f32_e32 v3, v40, v17
	v_fmac_f32_e32 v0, v38, v12
	v_fma_f32 v1, v39, v12, -v1
	v_fmac_f32_e32 v2, v40, v16
	v_fma_f32 v3, v41, v16, -v3
	ds_write2_b64 v6, v[0:1], v[2:3] offset0:39 offset1:52
	s_waitcnt vmcnt(16)
	v_mul_f32_e32 v0, v43, v19
	v_mul_f32_e32 v1, v42, v19
	s_waitcnt vmcnt(15)
	v_mul_f32_e32 v2, v45, v21
	v_mul_f32_e32 v3, v44, v21
	v_fmac_f32_e32 v0, v42, v18
	v_fma_f32 v1, v43, v18, -v1
	v_fmac_f32_e32 v2, v44, v20
	v_fma_f32 v3, v45, v20, -v3
	;; [unrolled: 11-line block ×7, first 2 shown]
	ds_write2_b64 v6, v[0:1], v[2:3] offset0:195 offset1:208
.LBB0_3:
	s_or_b64 exec, exec, s[2:3]
	s_load_dwordx2 s[2:3], s[0:1], 0x20
	s_load_dwordx2 s[4:5], s[0:1], 0x8
	v_mov_b32_e32 v0, 0
	v_mov_b32_e32 v1, 0
	s_waitcnt lgkmcnt(0)
	s_barrier
	s_waitcnt lgkmcnt(0)
                                        ; implicit-def: $vgpr6
                                        ; implicit-def: $vgpr12
                                        ; implicit-def: $vgpr10
                                        ; implicit-def: $vgpr24
                                        ; implicit-def: $vgpr22
                                        ; implicit-def: $vgpr44
                                        ; implicit-def: $vgpr38
                                        ; implicit-def: $vgpr34
	s_and_saveexec_b64 s[0:1], vcc
	s_cbranch_execz .LBB0_5
; %bb.4:
	v_lshl_add_u32 v16, v207, 3, v220
	ds_read2_b64 v[0:3], v16 offset1:13
	ds_read2_b64 v[32:35], v16 offset0:26 offset1:39
	ds_read2_b64 v[20:23], v16 offset0:52 offset1:65
	;; [unrolled: 1-line block ×7, first 2 shown]
	ds_read_b64 v[44:45], v16 offset:1664
.LBB0_5:
	s_or_b64 exec, exec, s[0:1]
	s_mov_b32 s16, 0xbf2c7751
	s_waitcnt lgkmcnt(0)
	v_pk_add_f32 v[62:63], v[44:45], v[2:3]
	v_pk_add_f32 v[16:17], v[2:3], v[44:45] neg_lo:[0,1] neg_hi:[0,1]
	s_mov_b32 s17, 0x3f3d2fb0
	s_mov_b32 s14, 0xbf7ee86f
	;; [unrolled: 1-line block ×3, first 2 shown]
	v_mov_b32_e32 v29, v63
	v_mov_b32_e32 v63, v16
	v_pk_add_f32 v[30:31], v[38:39], v[32:33]
	v_pk_add_f32 v[66:67], v[32:33], v[38:39] neg_lo:[0,1] neg_hi:[0,1]
	s_mov_b32 s0, s17
	s_mov_b32 s1, s16
	;; [unrolled: 1-line block ×4, first 2 shown]
	v_mov_b32_e32 v28, v17
	v_pk_mul_f32 v[68:69], v[62:63], s[0:1]
	v_mov_b32_e32 v64, v30
	v_mov_b32_e32 v65, v66
	s_mov_b32 s34, s15
	s_mov_b32 s35, s14
	;; [unrolled: 1-line block ×4, first 2 shown]
	v_pk_fma_f32 v[70:71], v[28:29], s[16:17], v[68:69]
	v_pk_fma_f32 v[16:17], v[28:29], s[16:17], v[68:69] neg_lo:[0,0,1] neg_hi:[0,0,1]
	v_mov_b32_e32 v40, v67
	v_mov_b32_e32 v41, v31
	v_pk_mul_f32 v[72:73], v[64:65], s[34:35]
	v_pk_mul_f32 v[76:77], v[62:63], s[0:1]
	s_mov_b32 s0, 0xbf4c4adb
	v_pk_fma_f32 v[74:75], v[40:41], s[14:15], v[72:73]
	v_pk_fma_f32 v[18:19], v[40:41], s[14:15], v[72:73] neg_lo:[0,0,1] neg_hi:[0,0,1]
	s_mov_b32 s1, 0xbf1a4643
	v_mov_b32_e32 v16, v70
	s_mov_b32 s42, s1
	s_mov_b32 s43, s0
	v_pk_add_f32 v[16:17], v[16:17], v[0:1]
	v_mov_b32_e32 v18, v74
	v_pk_mul_f32 v[78:79], v[64:65], s[42:43]
	v_pk_fma_f32 v[96:97], v[28:29], s[26:27], v[76:77]
	v_pk_add_f32 v[16:17], v[18:19], v[16:17]
	v_pk_fma_f32 v[18:19], v[28:29], s[26:27], v[76:77] neg_lo:[0,0,1] neg_hi:[0,0,1]
	v_pk_fma_f32 v[80:81], v[40:41], s[0:1], v[78:79]
	v_mov_b32_e32 v18, v96
	v_pk_fma_f32 v[42:43], v[40:41], s[0:1], v[78:79] neg_lo:[0,0,1] neg_hi:[0,0,1]
	v_pk_add_f32 v[18:19], v[18:19], v[0:1]
	v_mov_b32_e32 v42, v80
	v_pk_add_f32 v[46:47], v[34:35], v[36:37] neg_lo:[0,1] neg_hi:[0,1]
	v_pk_add_f32 v[18:19], v[42:43], v[18:19]
	s_mov_b32 s36, s1
	v_pk_add_f32 v[42:43], v[36:37], v[34:35]
	v_pk_mul_f32 v[48:49], v[46:47], s[0:1] op_sel_hi:[1,0]
	s_mov_b32 s18, 0xbe3c28d5
	v_pk_fma_f32 v[84:85], v[42:43], s[36:37], v[48:49] op_sel:[0,0,1] op_sel_hi:[1,0,0]
	v_pk_fma_f32 v[86:87], v[42:43], s[36:37], v[48:49] op_sel:[0,0,1] op_sel_hi:[1,0,0] neg_lo:[0,0,1] neg_hi:[0,0,1]
	v_mov_b32_e32 v48, v84
	v_mov_b32_e32 v49, v87
	s_mov_b32 s19, 0xbf7ba420
	s_mov_b32 s6, 0x3e3c28d5
	v_pk_add_f32 v[16:17], v[48:49], v[16:17]
	s_mov_b32 s46, s19
	v_pk_mul_f32 v[48:49], v[46:47], s[6:7] op_sel_hi:[1,0]
	v_pk_add_f32 v[120:121], v[20:21], v[26:27] neg_lo:[0,1] neg_hi:[0,1]
	v_pk_fma_f32 v[110:111], v[42:43], s[46:47], v[48:49] op_sel:[0,0,1] op_sel_hi:[1,0,0]
	v_pk_fma_f32 v[82:83], v[42:43], s[46:47], v[48:49] op_sel:[0,0,1] op_sel_hi:[1,0,0] neg_lo:[0,0,1] neg_hi:[0,0,1]
	v_mov_b32_e32 v48, v110
	v_mov_b32_e32 v49, v83
	v_pk_add_f32 v[18:19], v[48:49], v[18:19]
	v_pk_add_f32 v[48:49], v[26:27], v[20:21]
	v_pk_mul_f32 v[50:51], v[120:121], s[18:19] op_sel:[1,0] op_sel_hi:[0,0]
	v_pk_fma_f32 v[92:93], v[48:49], s[46:47], v[50:51] op_sel_hi:[1,0,1]
	v_pk_fma_f32 v[94:95], v[48:49], s[46:47], v[50:51] op_sel_hi:[1,0,1] neg_lo:[0,0,1] neg_hi:[0,0,1]
	v_mov_b32_e32 v50, v92
	v_mov_b32_e32 v51, v95
	s_mov_b32 s10, 0x3f763a35
	v_pk_add_f32 v[16:17], v[50:51], v[16:17]
	s_mov_b32 s20, 0xbe8c1d8e
	v_pk_mul_f32 v[50:51], v[120:121], s[10:11] op_sel:[1,0] op_sel_hi:[0,0]
	v_pk_fma_f32 v[88:89], v[48:49], s[20:21], v[50:51] op_sel_hi:[1,0,1]
	v_pk_fma_f32 v[90:91], v[48:49], s[20:21], v[50:51] op_sel_hi:[1,0,1] neg_lo:[0,0,1] neg_hi:[0,0,1]
	v_mov_b32_e32 v50, v88
	v_mov_b32_e32 v51, v91
	s_mov_b32 s6, 0x3f06c442
	v_pk_add_f32 v[134:135], v[22:23], v[24:25] neg_lo:[0,1] neg_hi:[0,1]
	v_pk_add_f32 v[18:19], v[50:51], v[18:19]
	s_mov_b32 s24, 0xbf59a7d5
	v_pk_add_f32 v[50:51], v[24:25], v[22:23]
	v_pk_mul_f32 v[52:53], v[134:135], s[6:7] op_sel:[1,0] op_sel_hi:[0,0]
	v_pk_fma_f32 v[102:103], v[50:51], s[24:25], v[52:53] op_sel_hi:[1,0,1]
	v_pk_fma_f32 v[104:105], v[50:51], s[24:25], v[52:53] op_sel_hi:[1,0,1] neg_lo:[0,0,1] neg_hi:[0,0,1]
	v_mov_b32_e32 v52, v102
	v_mov_b32_e32 v53, v105
	s_mov_b32 s28, 0x3f2c7751
	v_pk_add_f32 v[16:17], v[52:53], v[16:17]
	s_mov_b32 s50, s17
	v_pk_mul_f32 v[52:53], v[134:135], s[28:29] op_sel:[1,0] op_sel_hi:[0,0]
	v_pk_fma_f32 v[98:99], v[50:51], s[50:51], v[52:53] op_sel_hi:[1,0,1]
	v_pk_fma_f32 v[100:101], v[50:51], s[50:51], v[52:53] op_sel_hi:[1,0,1] neg_lo:[0,0,1] neg_hi:[0,0,1]
	v_mov_b32_e32 v52, v98
	v_mov_b32_e32 v53, v101
	v_pk_add_f32 v[140:141], v[8:9], v[14:15] neg_lo:[0,1] neg_hi:[0,1]
	v_pk_add_f32 v[18:19], v[52:53], v[18:19]
	v_pk_add_f32 v[52:53], v[14:15], v[8:9]
	v_pk_mul_f32 v[54:55], v[140:141], s[10:11] op_sel:[1,0] op_sel_hi:[0,0]
	v_pk_fma_f32 v[112:113], v[52:53], s[20:21], v[54:55] op_sel_hi:[1,0,1]
	v_pk_fma_f32 v[114:115], v[52:53], s[20:21], v[54:55] op_sel_hi:[1,0,1] neg_lo:[0,0,1] neg_hi:[0,0,1]
	s_mov_b32 s40, 0xbeb8f4ab
	v_mov_b32_e32 v54, v112
	v_mov_b32_e32 v55, v115
	s_mov_b32 s41, 0x3f6eb680
	v_pk_add_f32 v[16:17], v[54:55], v[16:17]
	s_mov_b32 s52, s41
	v_pk_mul_f32 v[54:55], v[140:141], s[40:41] op_sel:[1,0] op_sel_hi:[0,0]
	v_pk_fma_f32 v[106:107], v[52:53], s[52:53], v[54:55] op_sel_hi:[1,0,1]
	v_pk_fma_f32 v[108:109], v[52:53], s[52:53], v[54:55] op_sel_hi:[1,0,1] neg_lo:[0,0,1] neg_hi:[0,0,1]
	v_mov_b32_e32 v54, v106
	v_mov_b32_e32 v55, v109
	s_mov_b32 s22, 0x3f65296c
	v_pk_add_f32 v[158:159], v[10:11], v[12:13] neg_lo:[0,1] neg_hi:[0,1]
	v_pk_add_f32 v[18:19], v[54:55], v[18:19]
	s_mov_b32 s44, s27
	v_pk_add_f32 v[54:55], v[12:13], v[10:11]
	v_pk_mul_f32 v[56:57], v[158:159], s[22:23] op_sel:[1,0] op_sel_hi:[0,0]
	v_pk_fma_f32 v[122:123], v[54:55], s[44:45], v[56:57] op_sel_hi:[1,0,1]
	v_pk_fma_f32 v[124:125], v[54:55], s[44:45], v[56:57] op_sel_hi:[1,0,1] neg_lo:[0,0,1] neg_hi:[0,0,1]
	v_mov_b32_e32 v56, v122
	v_mov_b32_e32 v57, v125
	v_pk_add_f32 v[16:17], v[56:57], v[16:17]
	s_mov_b32 s54, s15
	v_pk_mul_f32 v[56:57], v[158:159], s[14:15] op_sel:[1,0] op_sel_hi:[0,0]
	v_pk_fma_f32 v[116:117], v[54:55], s[54:55], v[56:57] op_sel_hi:[1,0,1]
	v_pk_fma_f32 v[118:119], v[54:55], s[54:55], v[56:57] op_sel_hi:[1,0,1] neg_lo:[0,0,1] neg_hi:[0,0,1]
	v_mov_b32_e32 v56, v116
	v_mov_b32_e32 v57, v119
	s_mov_b32 s38, 0x3eb8f4ab
	v_pk_add_f32 v[164:165], v[4:5], v[6:7] neg_lo:[0,1] neg_hi:[0,1]
	v_pk_add_f32 v[60:61], v[56:57], v[18:19]
	v_pk_add_f32 v[56:57], v[6:7], v[4:5]
	v_pk_mul_f32 v[18:19], v[164:165], s[38:39] op_sel:[1,0] op_sel_hi:[0,0]
	v_pk_fma_f32 v[130:131], v[56:57], s[52:53], v[18:19] op_sel_hi:[1,0,1]
	v_pk_fma_f32 v[132:133], v[56:57], s[52:53], v[18:19] op_sel_hi:[1,0,1] neg_lo:[0,0,1] neg_hi:[0,0,1]
	s_mov_b32 s30, 0xbf06c442
	v_mov_b32_e32 v18, v130
	v_mov_b32_e32 v19, v133
	v_pk_add_f32 v[18:19], v[18:19], v[16:17]
	v_pk_mul_f32 v[16:17], v[164:165], s[30:31] op_sel:[1,0] op_sel_hi:[0,0]
	v_pk_fma_f32 v[126:127], v[56:57], s[24:25], v[16:17] op_sel_hi:[1,0,1]
	v_pk_fma_f32 v[128:129], v[56:57], s[24:25], v[16:17] op_sel_hi:[1,0,1] neg_lo:[0,0,1] neg_hi:[0,0,1]
	v_mov_b32_e32 v16, v126
	v_mov_b32_e32 v17, v129
	s_mov_b32 s48, s41
	s_mov_b32 s49, s40
	v_pk_add_f32 v[16:17], v[16:17], v[60:61]
	v_pk_mul_f32 v[60:61], v[66:67], s[16:17] op_sel:[1,0] op_sel_hi:[0,0]
	v_pk_mul_f32 v[174:175], v[62:63], s[48:49]
	v_pk_fma_f32 v[162:163], v[30:31], s[50:51], v[60:61] op_sel_hi:[1,0,1]
	v_pk_fma_f32 v[160:161], v[30:31], s[50:51], v[60:61] op_sel_hi:[1,0,1] neg_lo:[0,0,1] neg_hi:[0,0,1]
	v_pk_fma_f32 v[176:177], v[28:29], s[40:41], v[174:175]
	v_pk_fma_f32 v[30:31], v[28:29], s[40:41], v[174:175] neg_lo:[0,0,1] neg_hi:[0,0,1]
	v_mov_b32_e32 v60, v162
	v_mov_b32_e32 v30, v176
	v_pk_add_f32 v[30:31], v[30:31], v[0:1]
	v_mov_b32_e32 v61, v161
	s_mov_b32 s48, s19
	s_mov_b32 s49, s18
	v_pk_mul_f32 v[190:191], v[62:63], s[34:35]
	v_pk_add_f32 v[30:31], v[60:61], v[30:31]
	v_pk_fma_f32 v[192:193], v[28:29], s[14:15], v[190:191]
	v_pk_fma_f32 v[60:61], v[28:29], s[14:15], v[190:191] neg_lo:[0,0,1] neg_hi:[0,0,1]
	v_pk_mul_f32 v[194:195], v[64:65], s[48:49]
	v_mov_b32_e32 v60, v192
	v_pk_fma_f32 v[196:197], v[40:41], s[18:19], v[194:195]
	v_pk_fma_f32 v[136:137], v[40:41], s[18:19], v[194:195] neg_lo:[0,0,1] neg_hi:[0,0,1]
	v_pk_add_f32 v[60:61], v[60:61], v[0:1]
	v_mov_b32_e32 v136, v196
	v_pk_add_f32 v[60:61], v[136:137], v[60:61]
	v_pk_mul_f32 v[136:137], v[46:47], s[26:27] op_sel_hi:[1,0]
	s_mov_b32 s34, 0xbf763a35
	v_pk_fma_f32 v[172:173], v[42:43], s[44:45], v[136:137] op_sel:[0,0,1] op_sel_hi:[1,0,0]
	v_pk_fma_f32 v[168:169], v[42:43], s[44:45], v[136:137] op_sel:[0,0,1] op_sel_hi:[1,0,0] neg_lo:[0,0,1] neg_hi:[0,0,1]
	v_mov_b32_e32 v136, v172
	v_mov_b32_e32 v137, v169
	v_pk_add_f32 v[30:31], v[136:137], v[30:31]
	v_pk_mul_f32 v[136:137], v[46:47], s[10:11] op_sel_hi:[1,0]
	v_pk_mul_f32 v[144:145], v[134:135], s[26:27] op_sel:[1,0] op_sel_hi:[0,0]
	v_pk_fma_f32 v[202:203], v[42:43], s[20:21], v[136:137] op_sel:[0,0,1] op_sel_hi:[1,0,0]
	v_pk_fma_f32 v[136:137], v[42:43], s[20:21], v[136:137] op_sel:[0,0,1] op_sel_hi:[1,0,0] neg_lo:[0,0,1] neg_hi:[0,0,1]
	v_mov_b32_e32 v138, v202
	v_mov_b32_e32 v139, v137
	v_pk_add_f32 v[60:61], v[138:139], v[60:61]
	v_pk_mul_f32 v[138:139], v[120:121], s[14:15] op_sel:[1,0] op_sel_hi:[0,0]
	v_pk_fma_f32 v[170:171], v[48:49], s[54:55], v[138:139] op_sel_hi:[1,0,1]
	v_pk_fma_f32 v[166:167], v[48:49], s[54:55], v[138:139] op_sel_hi:[1,0,1] neg_lo:[0,0,1] neg_hi:[0,0,1]
	v_mov_b32_e32 v138, v170
	v_mov_b32_e32 v139, v167
	v_pk_add_f32 v[30:31], v[138:139], v[30:31]
	v_pk_mul_f32 v[138:139], v[120:121], s[38:39] op_sel:[1,0] op_sel_hi:[0,0]
	v_pk_fma_f32 v[204:205], v[48:49], s[52:53], v[138:139] op_sel_hi:[1,0,1]
	v_pk_fma_f32 v[138:139], v[48:49], s[52:53], v[138:139] op_sel_hi:[1,0,1] neg_lo:[0,0,1] neg_hi:[0,0,1]
	;; [unrolled: 6-line block ×3, first 2 shown]
	v_mov_b32_e32 v142, v178
	v_mov_b32_e32 v143, v181
	v_pk_add_f32 v[30:31], v[142:143], v[30:31]
	v_pk_fma_f32 v[142:143], v[50:51], s[44:45], v[144:145] op_sel_hi:[1,0,1]
	v_pk_fma_f32 v[144:145], v[50:51], s[44:45], v[144:145] op_sel_hi:[1,0,1] neg_lo:[0,0,1] neg_hi:[0,0,1]
	v_mov_b32_e32 v146, v142
	v_mov_b32_e32 v147, v145
	v_pk_add_f32 v[60:61], v[146:147], v[60:61]
	v_pk_mul_f32 v[146:147], v[140:141], s[0:1] op_sel:[1,0] op_sel_hi:[0,0]
	v_pk_fma_f32 v[182:183], v[52:53], s[36:37], v[146:147] op_sel_hi:[1,0,1]
	v_pk_fma_f32 v[184:185], v[52:53], s[36:37], v[146:147] op_sel_hi:[1,0,1] neg_lo:[0,0,1] neg_hi:[0,0,1]
	v_mov_b32_e32 v146, v182
	v_mov_b32_e32 v147, v185
	v_pk_mul_f32 v[148:149], v[140:141], s[30:31] op_sel:[1,0] op_sel_hi:[0,0]
	v_pk_add_f32 v[30:31], v[146:147], v[30:31]
	v_pk_fma_f32 v[146:147], v[52:53], s[24:25], v[148:149] op_sel_hi:[1,0,1]
	v_pk_fma_f32 v[148:149], v[52:53], s[24:25], v[148:149] op_sel_hi:[1,0,1] neg_lo:[0,0,1] neg_hi:[0,0,1]
	v_mov_b32_e32 v150, v146
	v_mov_b32_e32 v151, v149
	v_pk_add_f32 v[60:61], v[150:151], v[60:61]
	v_pk_mul_f32 v[150:151], v[158:159], s[30:31] op_sel:[1,0] op_sel_hi:[0,0]
	v_pk_fma_f32 v[186:187], v[54:55], s[24:25], v[150:151] op_sel_hi:[1,0,1]
	v_pk_fma_f32 v[188:189], v[54:55], s[24:25], v[150:151] op_sel_hi:[1,0,1] neg_lo:[0,0,1] neg_hi:[0,0,1]
	s_mov_b32 s44, 0x3f4c4adb
	v_mov_b32_e32 v150, v186
	v_mov_b32_e32 v151, v189
	v_pk_mul_f32 v[152:153], v[158:159], s[44:45] op_sel:[1,0] op_sel_hi:[0,0]
	v_pk_add_f32 v[30:31], v[150:151], v[30:31]
	v_pk_fma_f32 v[150:151], v[54:55], s[36:37], v[152:153] op_sel_hi:[1,0,1]
	v_pk_fma_f32 v[152:153], v[54:55], s[36:37], v[152:153] op_sel_hi:[1,0,1] neg_lo:[0,0,1] neg_hi:[0,0,1]
	v_mov_b32_e32 v154, v150
	v_mov_b32_e32 v155, v153
	v_pk_add_f32 v[208:209], v[154:155], v[60:61]
	v_pk_mul_f32 v[60:61], v[164:165], s[18:19] op_sel:[1,0] op_sel_hi:[0,0]
	v_pk_fma_f32 v[198:199], v[56:57], s[46:47], v[60:61] op_sel_hi:[1,0,1]
	v_pk_fma_f32 v[200:201], v[56:57], s[46:47], v[60:61] op_sel_hi:[1,0,1] neg_lo:[0,0,1] neg_hi:[0,0,1]
	v_mov_b32_e32 v60, v198
	v_mov_b32_e32 v61, v201
	v_pk_add_f32 v[60:61], v[60:61], v[30:31]
	v_pk_mul_f32 v[30:31], v[164:165], s[28:29] op_sel:[1,0] op_sel_hi:[0,0]
	v_pk_fma_f32 v[154:155], v[56:57], s[50:51], v[30:31] op_sel_hi:[1,0,1]
	v_pk_fma_f32 v[156:157], v[56:57], s[50:51], v[30:31] op_sel_hi:[1,0,1] neg_lo:[0,0,1] neg_hi:[0,0,1]
	v_mov_b32_e32 v30, v154
	v_mov_b32_e32 v31, v157
	v_pk_add_f32 v[30:31], v[30:31], v[208:209]
	v_mul_lo_u16_e32 v110, 17, v210
	s_barrier
	s_and_saveexec_b64 s[36:37], vcc
	s_cbranch_execz .LBB0_7
; %bb.6:
	v_pk_add_f32 v[2:3], v[2:3], v[0:1]
	v_mov_b32_e32 v161, v163
	v_pk_add_f32 v[2:3], v[32:33], v[2:3]
	v_mov_b32_e32 v169, v173
	v_pk_add_f32 v[2:3], v[34:35], v[2:3]
	s_mov_b32 s21, s10
	v_pk_add_f32 v[2:3], v[20:21], v[2:3]
	s_mov_b32 s25, s30
	v_pk_add_f32 v[2:3], v[22:23], v[2:3]
	v_mov_b32_e32 v167, v171
	v_pk_add_f32 v[2:3], v[8:9], v[2:3]
	v_pk_mul_f32 v[32:33], v[62:63], s[48:49]
	v_pk_add_f32 v[2:3], v[10:11], v[2:3]
	v_pk_mul_f32 v[10:11], v[62:63], s[24:25]
	;; [unrolled: 2-line block ×4, first 2 shown]
	v_pk_add_f32 v[2:3], v[12:13], v[2:3]
	s_mov_b32 s21, s34
	v_pk_add_f32 v[2:3], v[14:15], v[2:3]
	v_pk_mul_f32 v[8:9], v[62:63], s[42:43]
	v_pk_add_f32 v[2:3], v[24:25], v[2:3]
	v_mov_b32_e32 v181, v179
	v_pk_add_f32 v[2:3], v[26:27], v[2:3]
	v_mov_b32_e32 v26, v121
	v_pk_add_f32 v[2:3], v[36:37], v[2:3]
	v_pk_add_f32 v[36:37], v[190:191], v[4:5] neg_lo:[0,1] neg_hi:[0,1]
	v_pk_mul_f32 v[4:5], v[40:41], s[18:19]
	v_pk_add_f32 v[2:3], v[38:39], v[2:3]
	v_pk_add_f32 v[38:39], v[194:195], v[4:5] neg_lo:[0,1] neg_hi:[0,1]
	v_pk_mul_f32 v[4:5], v[28:29], s[26:27]
	v_mov_b32_e32 v27, v120
	v_pk_add_f32 v[120:121], v[76:77], v[4:5] neg_lo:[0,1] neg_hi:[0,1]
	v_pk_mul_f32 v[4:5], v[40:41], s[0:1]
	v_pk_add_f32 v[44:45], v[44:45], v[2:3]
	v_pk_add_f32 v[78:79], v[78:79], v[4:5] neg_lo:[0,1] neg_hi:[0,1]
	v_pk_mul_f32 v[4:5], v[28:29], s[16:17]
	v_mov_b32_e32 v76, v67
	v_pk_add_f32 v[68:69], v[68:69], v[4:5] neg_lo:[0,1] neg_hi:[0,1]
	v_pk_mul_f32 v[4:5], v[40:41], s[14:15]
	v_mov_b32_e32 v69, v71
	;; [unrolled: 3-line block ×3, first 2 shown]
	v_pk_add_f32 v[4:5], v[174:175], v[4:5] neg_lo:[0,1] neg_hi:[0,1]
	v_mov_b32_e32 v189, v187
	v_mov_b32_e32 v5, v177
	v_pk_add_f32 v[2:3], v[4:5], v[0:1]
	v_pk_mul_f32 v[4:5], v[62:63], s[20:21]
	v_pk_add_f32 v[2:3], v[160:161], v[2:3]
	v_mov_b32_e32 v37, v193
	v_pk_add_f32 v[66:67], v[168:169], v[2:3]
	v_mov_b32_e32 v201, v199
	;; [unrolled: 2-line block ×4, first 2 shown]
	v_pk_add_f32 v[62:63], v[184:185], v[62:63]
	v_add_lshl_u32 v58, v207, v110, 3
	v_pk_add_f32 v[62:63], v[188:189], v[62:63]
	v_pk_add_f32 v[36:37], v[36:37], v[0:1]
	;; [unrolled: 1-line block ×3, first 2 shown]
	v_mov_b32_e32 v137, v203
	v_mov_b32_e32 v79, v81
	;; [unrolled: 1-line block ×3, first 2 shown]
	ds_write2_b64 v58, v[44:45], v[62:63] offset1:1
	v_pk_add_f32 v[44:45], v[68:69], v[0:1]
	v_pk_add_f32 v[62:63], v[120:121], v[0:1]
	;; [unrolled: 1-line block ×3, first 2 shown]
	v_mov_b32_e32 v139, v205
	v_mov_b32_e32 v83, v111
	v_pk_add_f32 v[44:45], v[70:71], v[44:45]
	v_mov_b32_e32 v87, v85
	v_pk_add_f32 v[62:63], v[78:79], v[62:63]
	v_pk_add_f32 v[36:37], v[136:137], v[36:37]
	;; [unrolled: 1-line block ×3, first 2 shown]
	v_mov_b32_e32 v95, v93
	v_pk_add_f32 v[62:63], v[82:83], v[62:63]
	v_mov_b32_e32 v91, v89
	v_pk_add_f32 v[36:37], v[138:139], v[36:37]
	;; [unrolled: 2-line block ×8, first 2 shown]
	v_mov_b32_e32 v153, v151
	s_mov_b32 s35, s20
	v_pk_add_f32 v[44:45], v[114:115], v[44:45]
	v_mov_b32_e32 v125, v123
	v_pk_add_f32 v[62:63], v[108:109], v[62:63]
	v_mov_b32_e32 v119, v117
	;; [unrolled: 2-line block ×3, first 2 shown]
	s_mov_b32 s25, s6
	v_pk_add_f32 v[44:45], v[124:125], v[44:45]
	v_mov_b32_e32 v133, v131
	v_pk_add_f32 v[62:63], v[118:119], v[62:63]
	v_mov_b32_e32 v129, v127
	v_pk_add_f32 v[86:87], v[156:157], v[36:37]
	v_pk_fma_f32 v[38:39], v[28:29], s[34:35], v[4:5] neg_lo:[1,0,0] neg_hi:[1,0,0]
	v_pk_fma_f32 v[36:37], v[28:29], s[34:35], v[4:5]
	v_pk_mul_f32 v[2:3], v[64:65], s[24:25]
	s_mov_b32 s7, s24
	v_pk_add_f32 v[44:45], v[132:133], v[44:45]
	v_pk_add_f32 v[62:63], v[128:129], v[62:63]
	v_mov_b32_e32 v39, v37
	s_mov_b32 s46, s41
	s_mov_b32 s47, s38
	ds_write2_b64 v58, v[44:45], v[62:63] offset0:2 offset1:3
	v_pk_add_f32 v[44:45], v[38:39], v[0:1]
	v_pk_fma_f32 v[62:63], v[76:77], s[6:7], v[2:3] neg_lo:[1,0,0] neg_hi:[1,0,0]
	v_pk_fma_f32 v[38:39], v[40:41], s[6:7], v[2:3]
	v_pk_mul_f32 v[34:35], v[64:65], s[46:47]
	s_mov_b32 s46, s27
	s_mov_b32 s47, s22
	v_mov_b32_e32 v63, v39
	v_pk_mul_f32 v[12:13], v[64:65], s[46:47]
	v_pk_add_f32 v[64:65], v[62:63], v[44:45]
	s_mov_b32 s46, s17
	v_pk_mul_f32 v[62:63], v[46:47], s[28:29] op_sel_hi:[1,0]
	s_mov_b32 s42, s27
	v_pk_fma_f32 v[44:45], v[42:43], s[46:47], v[62:63] op_sel:[0,0,1] op_sel_hi:[1,0,0] neg_lo:[0,0,1] neg_hi:[0,0,1]
	v_pk_fma_f32 v[62:63], v[42:43], s[46:47], v[62:63] op_sel:[0,0,1] op_sel_hi:[1,0,0]
	v_mov_b32_e32 v66, v44
	v_mov_b32_e32 v67, v63
	v_pk_add_f32 v[68:69], v[66:67], v[64:65]
	v_pk_mul_f32 v[66:67], v[26:27], s[26:27] op_sel_hi:[1,0]
	v_mov_b32_e32 v24, v135
	v_pk_fma_f32 v[64:65], v[48:49], s[42:43], v[66:67] op_sel_hi:[1,0,1] neg_lo:[0,0,1] neg_hi:[0,0,1]
	v_pk_fma_f32 v[66:67], v[48:49], s[42:43], v[66:67] op_sel_hi:[1,0,1]
	v_mov_b32_e32 v25, v134
	v_mov_b32_e32 v70, v64
	;; [unrolled: 1-line block ×3, first 2 shown]
	v_pk_add_f32 v[72:73], v[70:71], v[68:69]
	s_mov_b32 s52, s19
	v_pk_mul_f32 v[70:71], v[24:25], s[18:19] op_sel_hi:[1,0]
	v_mov_b32_e32 v22, v141
	v_pk_fma_f32 v[68:69], v[50:51], s[52:53], v[70:71] op_sel_hi:[1,0,1] neg_lo:[0,0,1] neg_hi:[0,0,1]
	v_pk_fma_f32 v[70:71], v[50:51], s[52:53], v[70:71] op_sel_hi:[1,0,1]
	v_mov_b32_e32 v23, v140
	v_mov_b32_e32 v74, v68
	;; [unrolled: 1-line block ×3, first 2 shown]
	s_mov_b32 s48, 0x3f7ee86f
	v_pk_add_f32 v[78:79], v[74:75], v[72:73]
	s_mov_b32 s26, s15
	v_pk_mul_f32 v[74:75], v[22:23], s[48:49] op_sel_hi:[1,0]
	v_mov_b32_e32 v20, v159
	v_pk_fma_f32 v[72:73], v[52:53], s[26:27], v[74:75] op_sel_hi:[1,0,1] neg_lo:[0,0,1] neg_hi:[0,0,1]
	v_pk_fma_f32 v[74:75], v[52:53], s[26:27], v[74:75] op_sel_hi:[1,0,1]
	v_mov_b32_e32 v21, v158
	v_mov_b32_e32 v80, v72
	;; [unrolled: 1-line block ×3, first 2 shown]
	v_pk_add_f32 v[82:83], v[80:81], v[78:79]
	s_mov_b32 s54, s41
	v_pk_mul_f32 v[80:81], v[20:21], s[40:41] op_sel_hi:[1,0]
	v_mov_b32_e32 v14, v165
	v_pk_fma_f32 v[78:79], v[54:55], s[54:55], v[80:81] op_sel_hi:[1,0,1] neg_lo:[0,0,1] neg_hi:[0,0,1]
	v_pk_fma_f32 v[80:81], v[54:55], s[54:55], v[80:81] op_sel_hi:[1,0,1]
	v_mov_b32_e32 v15, v164
	v_mov_b32_e32 v84, v78
	;; [unrolled: 1-line block ×3, first 2 shown]
	v_pk_add_f32 v[88:89], v[84:85], v[82:83]
	s_mov_b32 s50, s1
	v_pk_mul_f32 v[84:85], v[14:15], s[0:1] op_sel_hi:[1,0]
	s_mov_b32 s11, s20
	v_pk_fma_f32 v[82:83], v[56:57], s[50:51], v[84:85] op_sel_hi:[1,0,1] neg_lo:[0,0,1] neg_hi:[0,0,1]
	v_pk_fma_f32 v[84:85], v[56:57], s[50:51], v[84:85] op_sel_hi:[1,0,1]
	v_mov_b32_e32 v90, v82
	v_mov_b32_e32 v91, v85
	v_pk_add_f32 v[88:89], v[90:91], v[88:89]
	ds_write2_b64 v58, v[86:87], v[88:89] offset0:4 offset1:5
	v_pk_fma_f32 v[86:87], v[28:29], s[0:1], v[8:9] neg_lo:[1,0,0] neg_hi:[1,0,0]
	v_pk_fma_f32 v[88:89], v[28:29], s[0:1], v[8:9]
	v_pk_fma_f32 v[90:91], v[76:77], s[10:11], v[6:7] neg_lo:[1,0,0] neg_hi:[1,0,0]
	v_mov_b32_e32 v87, v89
	v_pk_fma_f32 v[92:93], v[40:41], s[10:11], v[6:7]
	v_pk_add_f32 v[86:87], v[86:87], v[0:1]
	v_mov_b32_e32 v91, v93
	v_pk_add_f32 v[86:87], v[90:91], v[86:87]
	v_pk_mul_f32 v[90:91], v[46:47], s[40:41] op_sel_hi:[1,0]
	s_mov_b32 s31, s24
	v_pk_fma_f32 v[94:95], v[42:43], s[54:55], v[90:91] op_sel:[0,0,1] op_sel_hi:[1,0,0] neg_lo:[0,0,1] neg_hi:[0,0,1]
	v_pk_fma_f32 v[90:91], v[42:43], s[54:55], v[90:91] op_sel:[0,0,1] op_sel_hi:[1,0,0]
	v_mov_b32_e32 v96, v94
	v_mov_b32_e32 v97, v91
	v_pk_add_f32 v[86:87], v[96:97], v[86:87]
	v_pk_mul_f32 v[96:97], v[26:27], s[30:31] op_sel_hi:[1,0]
	s_mov_b32 s23, s27
	v_pk_fma_f32 v[98:99], v[48:49], s[24:25], v[96:97] op_sel_hi:[1,0,1] neg_lo:[0,0,1] neg_hi:[0,0,1]
	v_pk_fma_f32 v[96:97], v[48:49], s[24:25], v[96:97] op_sel_hi:[1,0,1]
	v_mov_b32_e32 v100, v98
	v_mov_b32_e32 v101, v97
	v_pk_add_f32 v[86:87], v[100:101], v[86:87]
	v_pk_mul_f32 v[100:101], v[24:25], s[48:49] op_sel_hi:[1,0]
	v_pk_fma_f32 v[120:121], v[28:29], s[30:31], v[10:11]
	v_pk_fma_f32 v[102:103], v[50:51], s[26:27], v[100:101] op_sel_hi:[1,0,1] neg_lo:[0,0,1] neg_hi:[0,0,1]
	v_pk_fma_f32 v[100:101], v[50:51], s[26:27], v[100:101] op_sel_hi:[1,0,1]
	v_mov_b32_e32 v104, v102
	v_mov_b32_e32 v105, v101
	v_pk_add_f32 v[86:87], v[104:105], v[86:87]
	v_pk_mul_f32 v[104:105], v[22:23], s[16:17] op_sel_hi:[1,0]
	v_pk_fma_f32 v[122:123], v[76:77], s[22:23], v[12:13] neg_lo:[1,0,0] neg_hi:[1,0,0]
	v_pk_fma_f32 v[106:107], v[52:53], s[46:47], v[104:105] op_sel_hi:[1,0,1] neg_lo:[0,0,1] neg_hi:[0,0,1]
	v_pk_fma_f32 v[104:105], v[52:53], s[46:47], v[104:105] op_sel_hi:[1,0,1]
	v_mov_b32_e32 v108, v106
	v_mov_b32_e32 v109, v105
	v_pk_add_f32 v[86:87], v[108:109], v[86:87]
	v_pk_mul_f32 v[108:109], v[20:21], s[18:19] op_sel_hi:[1,0]
	v_pk_fma_f32 v[124:125], v[40:41], s[22:23], v[12:13]
	v_pk_fma_f32 v[112:113], v[54:55], s[52:53], v[108:109] op_sel_hi:[1,0,1] neg_lo:[0,0,1] neg_hi:[0,0,1]
	v_pk_fma_f32 v[108:109], v[54:55], s[52:53], v[108:109] op_sel_hi:[1,0,1]
	v_mov_b32_e32 v114, v112
	v_mov_b32_e32 v115, v109
	v_pk_add_f32 v[86:87], v[114:115], v[86:87]
	v_pk_mul_f32 v[114:115], v[14:15], s[22:23] op_sel_hi:[1,0]
	v_mov_b32_e32 v123, v125
	v_pk_fma_f32 v[116:117], v[56:57], s[42:43], v[114:115] op_sel_hi:[1,0,1] neg_lo:[0,0,1] neg_hi:[0,0,1]
	v_pk_fma_f32 v[114:115], v[56:57], s[42:43], v[114:115] op_sel_hi:[1,0,1]
	v_mov_b32_e32 v118, v116
	v_mov_b32_e32 v119, v115
	v_pk_add_f32 v[86:87], v[118:119], v[86:87]
	v_pk_fma_f32 v[118:119], v[28:29], s[30:31], v[10:11] neg_lo:[1,0,0] neg_hi:[1,0,0]
	s_mov_b32 s39, s41
	v_mov_b32_e32 v119, v121
	v_pk_add_f32 v[118:119], v[118:119], v[0:1]
	v_pk_fma_f32 v[76:77], v[76:77], s[38:39], v[34:35] neg_lo:[1,0,0] neg_hi:[1,0,0]
	v_pk_add_f32 v[118:119], v[122:123], v[118:119]
	v_pk_mul_f32 v[122:123], v[46:47], s[14:15] op_sel_hi:[1,0]
	v_pk_mul_f32 v[46:47], v[46:47], s[30:31] op_sel_hi:[1,0]
	v_pk_fma_f32 v[126:127], v[42:43], s[26:27], v[122:123] op_sel:[0,0,1] op_sel_hi:[1,0,0] neg_lo:[0,0,1] neg_hi:[0,0,1]
	v_pk_fma_f32 v[122:123], v[42:43], s[26:27], v[122:123] op_sel:[0,0,1] op_sel_hi:[1,0,0]
	v_mov_b32_e32 v128, v126
	v_mov_b32_e32 v129, v123
	v_pk_add_f32 v[118:119], v[128:129], v[118:119]
	v_pk_mul_f32 v[128:129], v[26:27], s[44:45] op_sel_hi:[1,0]
	v_pk_mul_f32 v[26:27], v[26:27], s[28:29] op_sel_hi:[1,0]
	v_pk_fma_f32 v[130:131], v[48:49], s[50:51], v[128:129] op_sel_hi:[1,0,1] neg_lo:[0,0,1] neg_hi:[0,0,1]
	v_pk_fma_f32 v[128:129], v[48:49], s[50:51], v[128:129] op_sel_hi:[1,0,1]
	v_mov_b32_e32 v132, v130
	v_mov_b32_e32 v133, v129
	v_pk_add_f32 v[118:119], v[132:133], v[118:119]
	v_pk_mul_f32 v[132:133], v[24:25], s[40:41] op_sel_hi:[1,0]
	v_pk_mul_f32 v[24:25], v[24:25], s[0:1] op_sel_hi:[1,0]
	v_pk_fma_f32 v[134:135], v[50:51], s[54:55], v[132:133] op_sel_hi:[1,0,1] neg_lo:[0,0,1] neg_hi:[0,0,1]
	v_pk_fma_f32 v[132:133], v[50:51], s[54:55], v[132:133] op_sel_hi:[1,0,1]
	v_mov_b32_e32 v136, v134
	v_mov_b32_e32 v137, v133
	v_pk_add_f32 v[118:119], v[136:137], v[118:119]
	v_pk_mul_f32 v[136:137], v[22:23], s[18:19] op_sel_hi:[1,0]
	v_pk_fma_f32 v[10:11], v[28:29], s[30:31], v[10:11] neg_lo:[0,0,1] neg_hi:[0,0,1]
	v_pk_fma_f32 v[138:139], v[52:53], s[52:53], v[136:137] op_sel_hi:[1,0,1] neg_lo:[0,0,1] neg_hi:[0,0,1]
	v_pk_fma_f32 v[136:137], v[52:53], s[52:53], v[136:137] op_sel_hi:[1,0,1]
	v_mov_b32_e32 v140, v138
	v_mov_b32_e32 v141, v137
	v_pk_add_f32 v[118:119], v[140:141], v[118:119]
	v_pk_mul_f32 v[140:141], v[20:21], s[28:29] op_sel_hi:[1,0]
	v_pk_fma_f32 v[8:9], v[28:29], s[0:1], v[8:9] neg_lo:[0,0,1] neg_hi:[0,0,1]
	;; [unrolled: 7-line block ×3, first 2 shown]
	v_pk_fma_f32 v[146:147], v[56:57], s[20:21], v[144:145] op_sel_hi:[1,0,1] neg_lo:[0,0,1] neg_hi:[0,0,1]
	v_pk_fma_f32 v[144:145], v[56:57], s[20:21], v[144:145] op_sel_hi:[1,0,1]
	v_mov_b32_e32 v148, v146
	v_mov_b32_e32 v149, v145
	v_pk_add_f32 v[118:119], v[148:149], v[118:119]
	ds_write2_b64 v58, v[86:87], v[118:119] offset0:6 offset1:7
	v_pk_fma_f32 v[86:87], v[28:29], s[18:19], v[32:33] neg_lo:[1,0,0] neg_hi:[1,0,0]
	v_pk_fma_f32 v[118:119], v[28:29], s[18:19], v[32:33]
	v_pk_fma_f32 v[148:149], v[40:41], s[38:39], v[34:35]
	v_mov_b32_e32 v87, v119
	v_pk_add_f32 v[86:87], v[86:87], v[0:1]
	v_mov_b32_e32 v77, v149
	v_pk_add_f32 v[76:77], v[76:77], v[86:87]
	v_pk_fma_f32 v[86:87], v[42:43], s[24:25], v[46:47] op_sel:[0,0,1] op_sel_hi:[1,0,0] neg_lo:[0,0,1] neg_hi:[0,0,1]
	v_pk_fma_f32 v[42:43], v[42:43], s[24:25], v[46:47] op_sel:[0,0,1] op_sel_hi:[1,0,0]
	v_mov_b32_e32 v46, v86
	v_mov_b32_e32 v47, v43
	v_pk_add_f32 v[46:47], v[46:47], v[76:77]
	v_pk_fma_f32 v[76:77], v[48:49], s[46:47], v[26:27] op_sel_hi:[1,0,1] neg_lo:[0,0,1] neg_hi:[0,0,1]
	v_pk_fma_f32 v[26:27], v[48:49], s[46:47], v[26:27] op_sel_hi:[1,0,1]
	v_mov_b32_e32 v48, v76
	v_mov_b32_e32 v49, v27
	v_pk_fma_f32 v[32:33], v[28:29], s[18:19], v[32:33] neg_lo:[0,0,1] neg_hi:[0,0,1]
	v_pk_add_f32 v[46:47], v[48:49], v[46:47]
	v_pk_fma_f32 v[48:49], v[50:51], s[50:51], v[24:25] op_sel_hi:[1,0,1] neg_lo:[0,0,1] neg_hi:[0,0,1]
	v_pk_fma_f32 v[24:25], v[50:51], s[50:51], v[24:25] op_sel_hi:[1,0,1]
	v_mov_b32_e32 v119, v33
	v_pk_fma_f32 v[34:35], v[40:41], s[38:39], v[34:35] neg_lo:[0,0,1] neg_hi:[0,0,1]
	v_mov_b32_e32 v121, v11
	v_pk_fma_f32 v[12:13], v[40:41], s[22:23], v[12:13] neg_lo:[0,0,1] neg_hi:[0,0,1]
	;; [unrolled: 2-line block ×4, first 2 shown]
	v_mov_b32_e32 v50, v48
	v_mov_b32_e32 v51, v25
	v_pk_mul_f32 v[22:23], v[22:23], s[22:23] op_sel_hi:[1,0]
	v_pk_add_f32 v[32:33], v[118:119], v[0:1]
	v_mov_b32_e32 v149, v35
	v_pk_add_f32 v[10:11], v[120:121], v[0:1]
	v_mov_b32_e32 v125, v13
	v_pk_add_f32 v[8:9], v[88:89], v[0:1]
	v_mov_b32_e32 v93, v7
	v_pk_add_f32 v[0:1], v[36:37], v[0:1]
	v_mov_b32_e32 v39, v3
	v_pk_add_f32 v[46:47], v[50:51], v[46:47]
	v_pk_fma_f32 v[50:51], v[52:53], s[42:43], v[22:23] op_sel_hi:[1,0,1] neg_lo:[0,0,1] neg_hi:[0,0,1]
	v_pk_fma_f32 v[22:23], v[52:53], s[42:43], v[22:23] op_sel_hi:[1,0,1]
	v_pk_add_f32 v[32:33], v[148:149], v[32:33]
	v_mov_b32_e32 v43, v87
	v_pk_add_f32 v[10:11], v[124:125], v[10:11]
	v_mov_b32_e32 v123, v127
	v_pk_add_f32 v[6:7], v[92:93], v[8:9]
	v_mov_b32_e32 v91, v95
	v_pk_add_f32 v[0:1], v[38:39], v[0:1]
	v_mov_b32_e32 v63, v45
	v_mov_b32_e32 v52, v50
	v_mov_b32_e32 v53, v23
	v_pk_mul_f32 v[20:21], v[20:21], s[34:35] op_sel_hi:[1,0]
	v_pk_add_f32 v[32:33], v[42:43], v[32:33]
	v_mov_b32_e32 v27, v77
	v_pk_add_f32 v[10:11], v[122:123], v[10:11]
	v_mov_b32_e32 v129, v131
	v_pk_add_f32 v[6:7], v[90:91], v[6:7]
	v_mov_b32_e32 v97, v99
	v_pk_add_f32 v[0:1], v[62:63], v[0:1]
	v_mov_b32_e32 v67, v65
	v_pk_add_f32 v[46:47], v[52:53], v[46:47]
	v_pk_fma_f32 v[52:53], v[54:55], s[20:21], v[20:21] op_sel_hi:[1,0,1] neg_lo:[0,0,1] neg_hi:[0,0,1]
	v_pk_fma_f32 v[20:21], v[54:55], s[20:21], v[20:21] op_sel_hi:[1,0,1]
	v_pk_add_f32 v[26:27], v[26:27], v[32:33]
	v_mov_b32_e32 v25, v49
	v_pk_add_f32 v[10:11], v[128:129], v[10:11]
	v_mov_b32_e32 v133, v135
	v_pk_add_f32 v[6:7], v[96:97], v[6:7]
	v_mov_b32_e32 v101, v103
	v_pk_add_f32 v[0:1], v[66:67], v[0:1]
	v_mov_b32_e32 v71, v69
	;; [unrolled: 22-line block ×3, first 2 shown]
	v_mov_b32_e32 v56, v54
	v_mov_b32_e32 v57, v15
	v_pk_add_f32 v[20:21], v[20:21], v[22:23]
	v_mov_b32_e32 v15, v55
	v_pk_add_f32 v[10:11], v[140:141], v[10:11]
	;; [unrolled: 2-line block ×5, first 2 shown]
	v_pk_add_f32 v[14:15], v[14:15], v[20:21]
	v_pk_add_f32 v[10:11], v[144:145], v[10:11]
	v_pk_add_f32 v[6:7], v[114:115], v[6:7]
	v_pk_add_f32 v[0:1], v[84:85], v[0:1]
	ds_write2_b64 v58, v[46:47], v[14:15] offset0:8 offset1:9
	ds_write2_b64 v58, v[10:11], v[6:7] offset0:10 offset1:11
	;; [unrolled: 1-line block ×4, first 2 shown]
	ds_write_b64 v58, v[60:61] offset:128
.LBB0_7:
	s_or_b64 exec, exec, s[36:37]
	v_mul_u32_u24_e32 v0, 12, v210
	v_lshlrev_b32_e32 v28, 3, v0
	s_load_dwordx4 s[0:3], s[2:3], 0x0
	s_waitcnt lgkmcnt(0)
	s_barrier
	global_load_dwordx4 v[4:7], v28, s[4:5]
	global_load_dwordx4 v[0:3], v28, s[4:5] offset:16
	global_load_dwordx4 v[12:15], v28, s[4:5] offset:32
	;; [unrolled: 1-line block ×5, first 2 shown]
	v_add_lshl_u32 v222, v207, v210, 3
	ds_read2_b64 v[36:39], v222 offset1:17
	ds_read2_b64 v[32:35], v222 offset0:34 offset1:51
	ds_read2_b64 v[40:43], v222 offset0:68 offset1:85
	;; [unrolled: 1-line block ×5, first 2 shown]
	ds_read_b64 v[28:29], v222 offset:1632
	s_mov_b32 s18, 0x3f7e222b
	s_mov_b32 s14, 0x3df6dbef
	;; [unrolled: 1-line block ×20, first 2 shown]
	v_lshl_add_u32 v221, v210, 3, v206
	s_waitcnt vmcnt(5) lgkmcnt(5)
	v_pk_mul_f32 v[64:65], v[32:33], v[6:7] op_sel:[1,0] op_sel_hi:[0,1]
	s_waitcnt vmcnt(4)
	v_mov_b32_e32 v64, v1
	v_pk_mul_f32 v[66:67], v[34:35], v[0:1] op_sel:[1,0] op_sel_hi:[0,1]
	v_mov_b32_e32 v84, v65
	v_pk_mul_f32 v[64:65], v[34:35], v[64:65] op_sel:[1,0] op_sel_hi:[0,1]
	v_mov_b32_e32 v86, v67
	v_mov_b32_e32 v66, v3
	s_waitcnt lgkmcnt(4)
	v_pk_mul_f32 v[68:69], v[40:41], v[2:3] op_sel:[1,0] op_sel_hi:[0,1]
	s_waitcnt vmcnt(2) lgkmcnt(3)
	v_pk_mul_f32 v[74:75], v[46:47], v[8:9] op_sel:[1,0] op_sel_hi:[0,1]
	s_waitcnt vmcnt(1) lgkmcnt(2)
	v_pk_mul_f32 v[78:79], v[50:51], v[24:25] op_sel:[1,0] op_sel_hi:[0,1]
	v_pk_fma_f32 v[112:113], v[34:35], v[0:1], v[64:65] neg_lo:[0,0,1] neg_hi:[0,0,1]
	v_pk_fma_f32 v[114:115], v[34:35], v[0:1], v[86:87] op_sel:[1,0,0] op_sel_hi:[0,1,1]
	s_waitcnt vmcnt(0)
	v_mov_b32_e32 v34, v23
	v_mov_b32_e32 v56, v5
	v_pk_mul_f32 v[62:63], v[38:39], v[4:5] op_sel:[1,0] op_sel_hi:[0,1]
	v_mov_b32_e32 v68, v13
	v_pk_mul_f32 v[70:71], v[42:43], v[12:13] op_sel:[1,0] op_sel_hi:[0,1]
	;; [unrolled: 2-line block ×3, first 2 shown]
	v_mov_b32_e32 v78, v27
	s_waitcnt lgkmcnt(1)
	v_pk_mul_f32 v[82:83], v[54:55], v[20:21] op_sel:[1,0] op_sel_hi:[0,1]
	v_pk_mul_f32 v[66:67], v[40:41], v[66:67] op_sel:[1,0] op_sel_hi:[0,1]
	v_mov_b32_e32 v88, v69
	s_waitcnt lgkmcnt(0)
	v_pk_mul_f32 v[34:35], v[28:29], v[34:35] op_sel:[1,0] op_sel_hi:[0,1]
	v_mov_b32_e32 v62, v7
	v_pk_mul_f32 v[72:73], v[44:45], v[14:15] op_sel:[1,0] op_sel_hi:[0,1]
	v_mov_b32_e32 v76, v25
	v_pk_mul_f32 v[80:81], v[52:53], v[26:27] op_sel:[1,0] op_sel_hi:[0,1]
	v_pk_mul_f32 v[56:57], v[38:39], v[56:57] op_sel:[1,0] op_sel_hi:[0,1]
	v_mov_b32_e32 v82, v63
	v_pk_mul_f32 v[68:69], v[42:43], v[68:69] op_sel:[1,0] op_sel_hi:[0,1]
	v_mov_b32_e32 v90, v71
	v_mov_b32_e32 v94, v75
	v_pk_mul_f32 v[74:75], v[48:49], v[74:75] op_sel:[1,0] op_sel_hi:[0,1]
	v_mov_b32_e32 v96, v77
	v_mov_b32_e32 v98, v79
	v_pk_mul_f32 v[78:79], v[52:53], v[78:79] op_sel:[1,0] op_sel_hi:[0,1]
	v_pk_fma_f32 v[116:117], v[40:41], v[2:3], v[66:67] neg_lo:[0,0,1] neg_hi:[0,0,1]
	v_pk_fma_f32 v[118:119], v[40:41], v[2:3], v[88:89] op_sel:[1,0,0] op_sel_hi:[0,1,1]
	v_pk_fma_f32 v[40:41], v[28:29], v[22:23], v[34:35] neg_lo:[0,0,1] neg_hi:[0,0,1]
	v_pk_mul_f32 v[34:35], v[28:29], v[22:23] op_sel:[1,0] op_sel_hi:[0,1]
	v_mov_b32_e32 v72, v9
	v_mov_b32_e32 v80, v21
	v_pk_mul_f32 v[62:63], v[32:33], v[62:63] op_sel:[1,0] op_sel_hi:[0,1]
	v_pk_mul_f32 v[76:77], v[50:51], v[76:77] op_sel:[1,0] op_sel_hi:[0,1]
	v_mov_b32_e32 v100, v81
	v_pk_fma_f32 v[104:105], v[38:39], v[4:5], v[56:57] neg_lo:[0,0,1] neg_hi:[0,0,1]
	v_pk_fma_f32 v[106:107], v[38:39], v[4:5], v[82:83] op_sel:[1,0,0] op_sel_hi:[0,1,1]
	v_pk_fma_f32 v[68:69], v[42:43], v[12:13], v[68:69] neg_lo:[0,0,1] neg_hi:[0,0,1]
	v_pk_fma_f32 v[86:87], v[42:43], v[12:13], v[90:91] op_sel:[1,0,0] op_sel_hi:[0,1,1]
	;; [unrolled: 2-line block ×3, first 2 shown]
	v_pk_fma_f32 v[128:129], v[52:53], v[26:27], v[78:79] neg_lo:[0,0,1] neg_hi:[0,0,1]
	v_mov_b32_e32 v34, v35
	v_mov_b32_e32 v78, v37
	;; [unrolled: 1-line block ×3, first 2 shown]
	v_pk_mul_f32 v[72:73], v[46:47], v[72:73] op_sel:[1,0] op_sel_hi:[0,1]
	v_pk_mul_f32 v[80:81], v[54:55], v[80:81] op_sel:[1,0] op_sel_hi:[0,1]
	v_mov_b32_e32 v102, v83
	v_pk_fma_f32 v[108:109], v[32:33], v[6:7], v[62:63] neg_lo:[0,0,1] neg_hi:[0,0,1]
	v_pk_fma_f32 v[84:85], v[32:33], v[6:7], v[84:85] op_sel:[1,0,0] op_sel_hi:[0,1,1]
	v_pk_fma_f32 v[124:125], v[50:51], v[24:25], v[76:77] neg_lo:[0,0,1] neg_hi:[0,0,1]
	v_pk_fma_f32 v[100:101], v[52:53], v[26:27], v[100:101] op_sel:[1,0,0] op_sel_hi:[0,1,1]
	v_pk_fma_f32 v[52:53], v[28:29], v[22:23], v[34:35] op_sel:[1,0,0] op_sel_hi:[0,1,1]
	v_mov_b32_e32 v28, v68
	v_mov_b32_e32 v29, v86
	;; [unrolled: 1-line block ×4, first 2 shown]
	v_pk_add_f32 v[76:77], v[36:37], v[104:105]
	v_pk_add_f32 v[78:79], v[78:79], v[106:107]
	v_pk_fma_f32 v[72:73], v[46:47], v[8:9], v[72:73] neg_lo:[0,0,1] neg_hi:[0,0,1]
	v_pk_fma_f32 v[120:121], v[46:47], v[8:9], v[94:95] op_sel:[1,0,0] op_sel_hi:[0,1,1]
	v_pk_fma_f32 v[32:33], v[54:55], v[20:21], v[80:81] neg_lo:[0,0,1] neg_hi:[0,0,1]
	v_pk_fma_f32 v[46:47], v[54:55], v[20:21], v[102:103] op_sel:[1,0,0] op_sel_hi:[0,1,1]
	v_pk_add_f32 v[54:55], v[28:29], v[34:35] neg_lo:[0,1] neg_hi:[0,1]
	v_pk_add_f32 v[76:77], v[76:77], v[108:109]
	v_pk_add_f32 v[78:79], v[78:79], v[84:85]
	v_mov_b32_e32 v70, v15
	v_pk_fma_f32 v[126:127], v[50:51], v[24:25], v[98:99] op_sel:[1,0,0] op_sel_hi:[0,1,1]
	v_pk_add_f32 v[50:51], v[28:29], v[34:35]
	v_pk_mul_f32 v[34:35], v[54:55], s[18:19] op_sel:[1,0] op_sel_hi:[0,0]
	v_pk_add_f32 v[76:77], v[76:77], v[112:113]
	v_pk_add_f32 v[78:79], v[78:79], v[114:115]
	v_pk_mul_f32 v[70:71], v[44:45], v[70:71] op_sel:[1,0] op_sel_hi:[0,1]
	v_pk_fma_f32 v[88:89], v[44:45], v[14:15], v[92:93] op_sel:[1,0,0] op_sel_hi:[0,1,1]
	v_pk_fma_f32 v[92:93], v[50:51], s[14:15], v[34:35] op_sel_hi:[1,0,1]
	v_pk_fma_f32 v[94:95], v[50:51], s[14:15], v[34:35] op_sel_hi:[1,0,1] neg_lo:[0,0,1] neg_hi:[0,0,1]
	v_pk_mul_f32 v[34:35], v[54:55], s[26:27] op_sel:[1,0] op_sel_hi:[0,0]
	v_pk_add_f32 v[76:77], v[76:77], v[116:117]
	v_pk_add_f32 v[78:79], v[78:79], v[118:119]
	v_pk_fma_f32 v[70:71], v[44:45], v[14:15], v[70:71] neg_lo:[0,0,1] neg_hi:[0,0,1]
	v_pk_fma_f32 v[44:45], v[50:51], s[10:11], v[34:35] op_sel_hi:[1,0,1] neg_lo:[0,0,1] neg_hi:[0,0,1]
	v_pk_add_f32 v[68:69], v[76:77], v[68:69]
	v_pk_add_f32 v[76:77], v[78:79], v[86:87]
	v_mov_b32_e32 v64, v44
	v_mov_b32_e32 v44, v70
	v_pk_add_f32 v[68:69], v[68:69], v[70:71]
	v_pk_add_f32 v[70:71], v[76:77], v[88:89]
	;; [unrolled: 1-line block ×8, first 2 shown]
	v_pk_fma_f32 v[42:43], v[50:51], s[10:11], v[34:35] op_sel_hi:[1,0,1]
	v_pk_mul_f32 v[34:35], v[54:55], s[16:17] op_sel:[1,0] op_sel_hi:[0,0]
	v_pk_add_f32 v[76:77], v[68:69], v[128:129]
	v_pk_add_f32 v[80:81], v[70:71], v[100:101]
	;; [unrolled: 1-line block ×3, first 2 shown]
	v_pk_add_f32 v[70:71], v[104:105], v[40:41] neg_lo:[0,1] neg_hi:[0,1]
	v_pk_fma_f32 v[82:83], v[50:51], s[20:21], v[34:35] op_sel_hi:[1,0,1] neg_lo:[0,0,1] neg_hi:[0,0,1]
	v_pk_fma_f32 v[34:35], v[50:51], s[20:21], v[34:35] op_sel_hi:[1,0,1]
	v_mov_b32_e32 v48, v72
	v_mov_b32_e32 v49, v120
	;; [unrolled: 1-line block ×3, first 2 shown]
	v_pk_add_f32 v[120:121], v[106:107], v[52:53] neg_lo:[0,1] neg_hi:[0,1]
	v_pk_add_f32 v[72:73], v[106:107], v[52:53]
	s_mov_b32 s21, s24
	v_mov_b32_e32 v70, v120
	v_mov_b32_e32 v71, v72
	v_pk_mul_f32 v[72:73], v[68:69], s[20:21]
	v_mov_b32_e32 v65, v43
	v_pk_fma_f32 v[74:75], v[120:121], s[24:25], v[72:73] neg_lo:[1,0,0] neg_hi:[1,0,0]
	v_pk_fma_f32 v[78:79], v[70:71], s[24:25], v[72:73]
	v_pk_fma_f32 v[72:73], v[70:71], s[24:25], v[72:73] neg_lo:[0,0,1] neg_hi:[0,0,1]
	s_mov_b32 s25, 0x3f116cb1
	s_mov_b32 s24, 0xbf52af12
	;; [unrolled: 1-line block ×4, first 2 shown]
	v_pk_mul_f32 v[86:87], v[68:69], s[34:35]
	v_mov_b32_e32 v43, v45
	v_mov_b32_e32 v45, v88
	;; [unrolled: 1-line block ×4, first 2 shown]
	v_pk_fma_f32 v[72:73], v[120:121], s[24:25], v[86:87] neg_lo:[1,0,0] neg_hi:[1,0,0]
	v_pk_fma_f32 v[88:89], v[70:71], s[24:25], v[86:87]
	v_pk_add_f32 v[122:123], v[36:37], v[78:79]
	v_mov_b32_e32 v73, v89
	v_pk_add_f32 v[102:103], v[36:37], v[72:73]
	v_pk_add_f32 v[78:79], v[108:109], v[32:33]
	v_pk_add_f32 v[72:73], v[108:109], v[32:33] neg_lo:[0,1] neg_hi:[0,1]
	v_pk_add_f32 v[98:99], v[36:37], v[74:75]
	v_mov_b32_e32 v79, v72
	v_pk_add_f32 v[74:75], v[84:85], v[46:47] neg_lo:[0,1] neg_hi:[0,1]
	v_pk_add_f32 v[84:85], v[84:85], v[46:47]
	v_mov_b32_e32 v72, v74
	v_mov_b32_e32 v73, v84
	v_pk_mul_f32 v[84:85], v[78:79], s[36:37]
	v_pk_fma_f32 v[86:87], v[70:71], s[24:25], v[86:87] neg_lo:[0,0,1] neg_hi:[0,0,1]
	v_pk_fma_f32 v[104:105], v[74:75], s[28:29], v[84:85] neg_lo:[1,0,0] neg_hi:[1,0,0]
	v_pk_fma_f32 v[130:131], v[72:73], s[28:29], v[84:85]
	v_mov_b32_e32 v89, v87
	v_pk_fma_f32 v[84:85], v[72:73], s[28:29], v[84:85] neg_lo:[0,0,1] neg_hi:[0,0,1]
	v_pk_mul_f32 v[28:29], v[54:55], s[4:5] op_sel:[1,0] op_sel_hi:[0,0]
	v_pk_add_f32 v[62:63], v[44:45], v[48:49] neg_lo:[0,1] neg_hi:[0,1]
	v_mov_b32_e32 v105, v131
	v_pk_add_f32 v[86:87], v[36:37], v[88:89]
	v_mov_b32_e32 v131, v85
	v_pk_fma_f32 v[38:39], v[50:51], s[6:7], v[28:29] op_sel_hi:[1,0,1]
	v_pk_fma_f32 v[28:29], v[50:51], s[6:7], v[28:29] op_sel_hi:[1,0,1] neg_lo:[0,0,1] neg_hi:[0,0,1]
	v_pk_add_f32 v[56:57], v[44:45], v[48:49]
	v_pk_mul_f32 v[44:45], v[62:63], s[22:23] op_sel:[1,0] op_sel_hi:[0,0]
	v_pk_add_f32 v[130:131], v[130:131], v[86:87]
	v_pk_add_f32 v[84:85], v[112:113], v[128:129]
	v_pk_add_f32 v[86:87], v[112:113], v[128:129] neg_lo:[0,1] neg_hi:[0,1]
	v_mov_b32_e32 v90, v38
	v_mov_b32_e32 v91, v29
	;; [unrolled: 1-line block ×3, first 2 shown]
	v_pk_fma_f32 v[48:49], v[56:57], s[10:11], v[44:45] op_sel_hi:[1,0,1] neg_lo:[0,0,1] neg_hi:[0,0,1]
	v_pk_fma_f32 v[38:39], v[56:57], s[10:11], v[44:45] op_sel_hi:[1,0,1]
	v_mov_b32_e32 v85, v86
	v_pk_add_f32 v[86:87], v[114:115], v[100:101] neg_lo:[0,1] neg_hi:[0,1]
	v_pk_add_f32 v[100:101], v[114:115], v[100:101]
	s_mov_b32 s11, s22
	v_mov_b32_e32 v88, v86
	v_mov_b32_e32 v89, v100
	s_mov_b32 s23, s10
	v_pk_mul_f32 v[112:113], v[84:85], s[10:11]
	s_mov_b32 s7, s4
	v_pk_fma_f32 v[100:101], v[86:87], s[22:23], v[112:113] neg_lo:[1,0,0] neg_hi:[1,0,0]
	v_pk_fma_f32 v[114:115], v[88:89], s[22:23], v[112:113]
	v_pk_add_f32 v[102:103], v[104:105], v[102:103]
	v_mov_b32_e32 v101, v115
	s_mov_b32 s5, s6
	v_pk_mul_f32 v[132:133], v[68:69], s[6:7]
	v_pk_add_f32 v[128:129], v[100:101], v[102:103]
	v_pk_fma_f32 v[100:101], v[120:121], s[4:5], v[132:133] neg_lo:[1,0,0] neg_hi:[1,0,0]
	v_pk_fma_f32 v[134:135], v[70:71], s[4:5], v[132:133]
	s_mov_b32 s19, s14
	v_pk_mul_f32 v[136:137], v[78:79], s[38:39]
	v_mov_b32_e32 v101, v135
	v_pk_fma_f32 v[102:103], v[74:75], s[18:19], v[136:137] neg_lo:[1,0,0] neg_hi:[1,0,0]
	v_pk_fma_f32 v[138:139], v[72:73], s[18:19], v[136:137]
	v_pk_add_f32 v[100:101], v[36:37], v[100:101]
	v_mov_b32_e32 v103, v139
	v_pk_mul_f32 v[140:141], v[84:85], s[34:35]
	v_pk_add_f32 v[100:101], v[102:103], v[100:101]
	v_pk_fma_f32 v[102:103], v[86:87], s[24:25], v[140:141] neg_lo:[1,0,0] neg_hi:[1,0,0]
	v_pk_fma_f32 v[142:143], v[88:89], s[24:25], v[140:141]
	v_pk_mul_f32 v[108:109], v[78:79], s[34:35]
	v_mov_b32_e32 v103, v143
	v_pk_add_f32 v[144:145], v[102:103], v[100:101]
	v_pk_add_f32 v[100:101], v[116:117], v[124:125]
	v_pk_add_f32 v[116:117], v[116:117], v[124:125] neg_lo:[0,1] neg_hi:[0,1]
	s_mov_b32 s34, 0x3f29c268
	v_mov_b32_e32 v101, v116
	v_pk_add_f32 v[102:103], v[118:119], v[126:127] neg_lo:[0,1] neg_hi:[0,1]
	v_pk_add_f32 v[118:119], v[118:119], v[126:127]
	s_mov_b32 s38, s6
	s_mov_b32 s39, s34
	v_mov_b32_e32 v104, v102
	v_mov_b32_e32 v105, v118
	s_mov_b32 s35, s6
	v_pk_mul_f32 v[124:125], v[100:101], s[38:39]
	v_pk_mul_f32 v[152:153], v[78:79], s[38:39]
	v_pk_fma_f32 v[126:127], v[102:103], s[34:35], v[124:125] neg_lo:[1,0,0] neg_hi:[1,0,0]
	v_pk_fma_f32 v[146:147], v[104:105], s[34:35], v[124:125]
	v_pk_fma_f32 v[154:155], v[74:75], s[34:35], v[152:153] neg_lo:[1,0,0] neg_hi:[1,0,0]
	v_mov_b32_e32 v127, v147
	v_pk_add_f32 v[126:127], v[126:127], v[128:129]
	v_pk_mul_f32 v[128:129], v[68:69], s[36:37]
	v_pk_fma_f32 v[156:157], v[72:73], s[34:35], v[152:153]
	v_pk_fma_f32 v[148:149], v[120:121], s[28:29], v[128:129] neg_lo:[1,0,0] neg_hi:[1,0,0]
	v_pk_fma_f32 v[150:151], v[70:71], s[28:29], v[128:129]
	v_mov_b32_e32 v155, v157
	v_mov_b32_e32 v149, v151
	v_pk_add_f32 v[148:149], v[36:37], v[148:149]
	s_mov_b32 s21, s16
	v_mov_b32_e32 v44, v48
	v_mov_b32_e32 v45, v39
	;; [unrolled: 1-line block ×3, first 2 shown]
	v_pk_mul_f32 v[48:49], v[62:63], s[16:17] op_sel:[1,0] op_sel_hi:[0,0]
	v_pk_add_f32 v[148:149], v[154:155], v[148:149]
	s_mov_b32 s17, s20
	v_pk_mul_f32 v[154:155], v[84:85], s[20:21]
	s_mov_b32 s15, s30
	v_pk_fma_f32 v[158:159], v[86:87], s[16:17], v[154:155] neg_lo:[1,0,0] neg_hi:[1,0,0]
	v_pk_fma_f32 v[160:161], v[88:89], s[16:17], v[154:155]
	v_pk_fma_f32 v[128:129], v[70:71], s[28:29], v[128:129] neg_lo:[0,0,1] neg_hi:[0,0,1]
	v_mov_b32_e32 v159, v161
	v_pk_add_f32 v[148:149], v[158:159], v[148:149]
	v_pk_mul_f32 v[158:159], v[100:101], s[14:15]
	v_pk_fma_f32 v[112:113], v[88:89], s[22:23], v[112:113] neg_lo:[0,0,1] neg_hi:[0,0,1]
	v_pk_fma_f32 v[162:163], v[102:103], s[30:31], v[158:159] neg_lo:[1,0,0] neg_hi:[1,0,0]
	v_pk_fma_f32 v[164:165], v[104:105], s[30:31], v[158:159]
	v_mov_b32_e32 v151, v129
	v_mov_b32_e32 v163, v165
	v_pk_fma_f32 v[152:153], v[72:73], s[34:35], v[152:153] neg_lo:[0,0,1] neg_hi:[0,0,1]
	v_pk_fma_f32 v[154:155], v[88:89], s[16:17], v[154:155] neg_lo:[0,0,1] neg_hi:[0,0,1]
	v_mov_b32_e32 v115, v113
	v_pk_fma_f32 v[106:107], v[74:75], s[24:25], v[108:109] neg_lo:[1,0,0] neg_hi:[1,0,0]
	v_pk_add_f32 v[148:149], v[162:163], v[148:149]
	v_pk_fma_f32 v[162:163], v[72:73], s[24:25], v[108:109]
	v_pk_fma_f32 v[108:109], v[72:73], s[24:25], v[108:109] neg_lo:[0,0,1] neg_hi:[0,0,1]
	v_pk_mul_f32 v[128:129], v[84:85], s[14:15]
	v_mov_b32_e32 v157, v153
	v_pk_add_f32 v[150:151], v[36:37], v[150:151]
	v_pk_fma_f32 v[124:125], v[104:105], s[34:35], v[124:125] neg_lo:[0,0,1] neg_hi:[0,0,1]
	v_mov_b32_e32 v161, v155
	v_pk_fma_f32 v[154:155], v[104:105], s[30:31], v[158:159] neg_lo:[0,0,1] neg_hi:[0,0,1]
	s_mov_b32 s34, s10
	s_mov_b32 s35, s26
	v_pk_add_f32 v[112:113], v[114:115], v[130:131]
	v_mov_b32_e32 v115, v118
	v_mov_b32_e32 v118, v102
	;; [unrolled: 1-line block ×4, first 2 shown]
	v_pk_fma_f32 v[152:153], v[86:87], s[30:31], v[128:129] neg_lo:[1,0,0] neg_hi:[1,0,0]
	v_pk_add_f32 v[150:151], v[156:157], v[150:151]
	v_pk_fma_f32 v[156:157], v[88:89], s[30:31], v[128:129]
	v_pk_fma_f32 v[128:129], v[88:89], s[30:31], v[128:129] neg_lo:[0,0,1] neg_hi:[0,0,1]
	v_mov_b32_e32 v165, v155
	v_pk_mul_f32 v[154:155], v[100:101], s[34:35]
	v_mov_b32_e32 v163, v109
	v_mov_b32_e32 v114, v100
	s_mov_b32 s34, s29
	v_pk_mul_f32 v[116:117], v[118:119], s[28:29] op_sel_hi:[1,0]
	v_mov_b32_e32 v153, v157
	v_pk_add_f32 v[108:109], v[162:163], v[122:123]
	v_mov_b32_e32 v157, v129
	v_pk_fma_f32 v[118:119], v[114:115], s[34:35], v[116:117] op_sel_hi:[1,0,1]
	v_pk_fma_f32 v[114:115], v[114:115], s[34:35], v[116:117] op_sel_hi:[1,0,1] neg_lo:[0,0,1] neg_hi:[0,0,1]
	v_mov_b32_e32 v147, v125
	v_mov_b32_e32 v96, v92
	;; [unrolled: 1-line block ×3, first 2 shown]
	v_pk_add_f32 v[108:109], v[156:157], v[108:109]
	v_mov_b32_e32 v116, v118
	v_mov_b32_e32 v117, v115
	v_pk_add_f32 v[112:113], v[146:147], v[112:113]
	v_mov_b32_e32 v95, v93
	v_pk_add_f32 v[108:109], v[116:117], v[108:109]
	v_pk_add_f32 v[92:93], v[94:95], v[126:127]
	;; [unrolled: 1-line block ×3, first 2 shown]
	s_mov_b32 s36, s25
	v_pk_mul_f32 v[96:97], v[54:55], s[24:25] op_sel:[1,0] op_sel_hi:[0,0]
	v_pk_add_f32 v[90:91], v[90:91], v[108:109]
	v_pk_fma_f32 v[108:109], v[50:51], s[36:37], v[96:97] op_sel_hi:[1,0,1] neg_lo:[0,0,1] neg_hi:[0,0,1]
	v_pk_fma_f32 v[96:97], v[50:51], s[36:37], v[96:97] op_sel_hi:[1,0,1]
	v_mov_b32_e32 v112, v108
	v_mov_b32_e32 v113, v97
	;; [unrolled: 1-line block ×3, first 2 shown]
	v_pk_mul_f32 v[108:109], v[68:69], s[14:15]
	v_pk_mul_f32 v[122:123], v[78:79], s[10:11]
	v_pk_fma_f32 v[116:117], v[120:121], s[30:31], v[108:109] neg_lo:[1,0,0] neg_hi:[1,0,0]
	v_pk_fma_f32 v[120:121], v[70:71], s[30:31], v[108:109]
	v_pk_fma_f32 v[124:125], v[74:75], s[22:23], v[122:123] neg_lo:[1,0,0] neg_hi:[1,0,0]
	v_mov_b32_e32 v117, v121
	v_pk_fma_f32 v[126:127], v[72:73], s[22:23], v[122:123]
	s_mov_b32 s38, 0x3f6f5d39
	v_pk_fma_f32 v[108:109], v[70:71], s[30:31], v[108:109] neg_lo:[0,0,1] neg_hi:[0,0,1]
	v_pk_add_f32 v[116:117], v[36:37], v[116:117]
	v_mov_b32_e32 v125, v127
	s_mov_b32 s41, s38
	v_mov_b32_e32 v121, v109
	v_pk_add_f32 v[116:117], v[124:125], v[116:117]
	s_mov_b32 s39, s29
	v_pk_mul_f32 v[124:125], v[84:85], s[40:41]
	v_pk_add_f32 v[108:109], v[36:37], v[120:121]
	v_pk_fma_f32 v[120:121], v[72:73], s[22:23], v[122:123] neg_lo:[0,0,1] neg_hi:[0,0,1]
	v_pk_fma_f32 v[128:129], v[86:87], s[38:39], v[124:125] neg_lo:[1,0,0] neg_hi:[1,0,0]
	v_pk_fma_f32 v[130:131], v[88:89], s[38:39], v[124:125]
	v_mov_b32_e32 v127, v121
	v_pk_fma_f32 v[120:121], v[88:89], s[38:39], v[124:125] neg_lo:[0,0,1] neg_hi:[0,0,1]
	v_mov_b32_e32 v129, v131
	v_mov_b32_e32 v131, v121
	v_pk_mul_f32 v[120:121], v[100:101], s[20:21]
	v_pk_add_f32 v[108:109], v[126:127], v[108:109]
	v_pk_fma_f32 v[122:123], v[102:103], s[16:17], v[120:121] neg_lo:[1,0,0] neg_hi:[1,0,0]
	v_pk_fma_f32 v[124:125], v[104:105], s[16:17], v[120:121]
	v_pk_fma_f32 v[120:121], v[104:105], s[16:17], v[120:121] neg_lo:[0,0,1] neg_hi:[0,0,1]
	v_pk_add_f32 v[150:151], v[160:161], v[150:151]
	v_pk_add_f32 v[108:109], v[130:131], v[108:109]
	v_mov_b32_e32 v123, v125
	v_mov_b32_e32 v125, v121
	v_pk_add_f32 v[150:151], v[164:165], v[150:151]
	v_pk_add_f32 v[108:109], v[124:125], v[108:109]
	v_mov_b32_e32 v66, v82
	v_pk_add_f32 v[96:97], v[96:97], v[108:109]
	v_pk_add_f32 v[108:109], v[42:43], v[150:151]
	v_pk_fma_f32 v[42:43], v[70:71], s[4:5], v[132:133] neg_lo:[0,0,1] neg_hi:[0,0,1]
	v_mov_b32_e32 v67, v35
	v_mov_b32_e32 v35, v83
	;; [unrolled: 1-line block ×3, first 2 shown]
	v_pk_fma_f32 v[82:83], v[72:73], s[18:19], v[136:137] neg_lo:[0,0,1] neg_hi:[0,0,1]
	s_mov_b32 s27, s10
	v_pk_add_f32 v[42:43], v[36:37], v[134:135]
	v_mov_b32_e32 v139, v83
	v_pk_fma_f32 v[82:83], v[88:89], s[24:25], v[140:141] neg_lo:[0,0,1] neg_hi:[0,0,1]
	v_pk_fma_f32 v[158:159], v[102:103], s[26:27], v[154:155] neg_lo:[1,0,0] neg_hi:[1,0,0]
	v_pk_fma_f32 v[160:161], v[104:105], s[26:27], v[154:155]
	v_pk_add_f32 v[42:43], v[138:139], v[42:43]
	v_mov_b32_e32 v143, v83
	v_pk_fma_f32 v[82:83], v[104:105], s[26:27], v[154:155] neg_lo:[0,0,1] neg_hi:[0,0,1]
	v_mov_b32_e32 v159, v161
	v_pk_add_f32 v[42:43], v[142:143], v[42:43]
	v_mov_b32_e32 v161, v83
	v_pk_add_f32 v[42:43], v[160:161], v[42:43]
	v_mov_b32_e32 v115, v119
	v_pk_add_f32 v[82:83], v[34:35], v[42:43]
	v_pk_add_f32 v[34:35], v[106:107], v[98:99]
	v_pk_fma_f32 v[42:43], v[56:57], s[20:21], v[48:49] op_sel_hi:[1,0,1] neg_lo:[0,0,1] neg_hi:[0,0,1]
	v_pk_add_f32 v[34:35], v[152:153], v[34:35]
	s_mov_b32 s24, 0x3f52af12
	v_pk_add_f32 v[34:35], v[114:115], v[34:35]
	v_mov_b32_e32 v77, v80
	v_pk_add_f32 v[28:29], v[28:29], v[34:35]
	v_mov_b32_e32 v33, v46
	v_pk_add_f32 v[34:35], v[44:45], v[28:29]
	v_pk_fma_f32 v[44:45], v[56:57], s[20:21], v[48:49] op_sel_hi:[1,0,1]
	v_pk_add_f32 v[28:29], v[38:39], v[90:91]
	v_mov_b32_e32 v38, v42
	v_mov_b32_e32 v39, v45
	;; [unrolled: 1-line block ×3, first 2 shown]
	v_pk_mul_f32 v[42:43], v[56:57], s[6:7] op_sel_hi:[1,0]
	v_pk_add_f32 v[38:39], v[38:39], v[92:93]
	v_pk_fma_f32 v[90:91], v[62:63], s[4:5], v[42:43] op_sel:[1,0,0] op_sel_hi:[0,0,1] neg_lo:[1,0,0] neg_hi:[1,0,0]
	v_pk_fma_f32 v[92:93], v[62:63], s[4:5], v[42:43] op_sel:[1,0,0] op_sel_hi:[0,0,1]
	v_pk_mul_f32 v[48:49], v[62:63], s[24:25] op_sel:[1,0] op_sel_hi:[0,0]
	v_pk_add_f32 v[32:33], v[76:77], v[32:33]
	v_mov_b32_e32 v41, v52
	v_pk_add_f32 v[44:45], v[44:45], v[94:95]
	v_mov_b32_e32 v42, v92
	v_mov_b32_e32 v43, v91
	v_pk_fma_f32 v[94:95], v[56:57], s[36:37], v[48:49] op_sel_hi:[1,0,1] neg_lo:[0,0,1] neg_hi:[0,0,1]
	v_pk_fma_f32 v[48:49], v[56:57], s[36:37], v[48:49] op_sel_hi:[1,0,1]
	v_pk_add_f32 v[32:33], v[32:33], v[40:41]
	v_pk_add_f32 v[40:41], v[158:159], v[144:145]
	;; [unrolled: 1-line block ×3, first 2 shown]
	v_mov_b32_e32 v96, v94
	v_mov_b32_e32 v97, v49
	v_pk_add_f32 v[46:47], v[64:65], v[148:149]
	v_pk_add_f32 v[52:53], v[66:67], v[40:41]
	v_pk_mul_f32 v[40:41], v[54:55], s[28:29] op_sel:[1,0] op_sel_hi:[0,0]
	v_pk_fma_f32 v[54:55], v[50:51], s[34:35], v[40:41] op_sel_hi:[1,0,1] neg_lo:[0,0,1] neg_hi:[0,0,1]
	v_pk_fma_f32 v[64:65], v[50:51], s[34:35], v[40:41] op_sel_hi:[1,0,1]
	v_pk_add_f32 v[50:51], v[96:97], v[46:47]
	v_pk_mul_f32 v[46:47], v[62:63], s[28:29] op_sel:[1,0] op_sel_hi:[0,0]
	v_pk_fma_f32 v[76:77], v[56:57], s[34:35], v[46:47] op_sel_hi:[1,0,1] neg_lo:[0,0,1] neg_hi:[0,0,1]
	v_pk_fma_f32 v[46:47], v[56:57], s[34:35], v[46:47] op_sel_hi:[1,0,1]
	v_mov_b32_e32 v80, v76
	v_mov_b32_e32 v81, v47
	;; [unrolled: 1-line block ×3, first 2 shown]
	v_pk_mul_f32 v[70:71], v[70:71], s[22:23]
	v_pk_add_f32 v[52:53], v[80:81], v[52:53]
	v_pk_add_f32 v[46:47], v[46:47], v[82:83]
	v_pk_fma_f32 v[80:81], v[68:69], s[10:11], v[70:71]
	v_pk_fma_f32 v[82:83], v[68:69], s[10:11], v[70:71] neg_lo:[1,0,0] neg_hi:[1,0,0]
	v_pk_fma_f32 v[68:69], v[68:69], s[10:11], v[70:71] neg_lo:[0,0,1] neg_hi:[0,0,1]
	v_mov_b32_e32 v82, v80
	v_pk_mul_f32 v[78:79], v[78:79], s[20:21]
	v_mov_b32_e32 v69, v81
	v_pk_add_f32 v[82:83], v[36:37], v[82:83]
	v_pk_add_f32 v[36:37], v[36:37], v[68:69]
	v_pk_fma_f32 v[68:69], v[74:75], s[16:17], v[78:79] neg_lo:[1,0,0] neg_hi:[1,0,0]
	v_pk_fma_f32 v[70:71], v[72:73], s[16:17], v[78:79]
	v_pk_add_f32 v[116:117], v[128:129], v[116:117]
	v_mov_b32_e32 v69, v71
	v_pk_add_f32 v[36:37], v[68:69], v[36:37]
	v_pk_fma_f32 v[68:69], v[72:73], s[16:17], v[78:79] neg_lo:[0,0,1] neg_hi:[0,0,1]
	v_pk_mul_f32 v[62:63], v[62:63], s[18:19] op_sel:[1,0] op_sel_hi:[0,0]
	v_mov_b32_e32 v71, v69
	v_pk_add_f32 v[68:69], v[70:71], v[82:83]
	v_pk_mul_f32 v[70:71], v[84:85], s[6:7]
	v_pk_add_f32 v[116:117], v[122:123], v[116:117]
	v_pk_fma_f32 v[72:73], v[86:87], s[4:5], v[70:71] neg_lo:[1,0,0] neg_hi:[1,0,0]
	v_pk_fma_f32 v[74:75], v[88:89], s[4:5], v[70:71]
	v_pk_fma_f32 v[70:71], v[88:89], s[4:5], v[70:71] neg_lo:[0,0,1] neg_hi:[0,0,1]
	s_mov_b32 s4, s25
	v_mov_b32_e32 v70, v74
	s_mov_b32 s5, s24
	v_pk_add_f32 v[68:69], v[70:71], v[68:69]
	v_pk_mul_f32 v[70:71], v[100:101], s[4:5]
	v_mov_b32_e32 v73, v75
	v_pk_fma_f32 v[78:79], v[102:103], s[24:25], v[70:71] neg_lo:[1,0,0] neg_hi:[1,0,0]
	v_pk_fma_f32 v[80:81], v[104:105], s[24:25], v[70:71]
	v_pk_fma_f32 v[70:71], v[104:105], s[24:25], v[70:71] neg_lo:[0,0,1] neg_hi:[0,0,1]
	v_pk_add_f32 v[36:37], v[72:73], v[36:37]
	v_mov_b32_e32 v70, v80
	v_mov_b32_e32 v79, v81
	;; [unrolled: 1-line block ×4, first 2 shown]
	v_pk_fma_f32 v[76:77], v[56:57], s[14:15], v[62:63] op_sel_hi:[1,0,1] neg_lo:[0,0,1] neg_hi:[0,0,1]
	v_pk_fma_f32 v[56:57], v[56:57], s[14:15], v[62:63] op_sel_hi:[1,0,1]
	v_pk_add_f32 v[68:69], v[70:71], v[68:69]
	v_pk_add_f32 v[36:37], v[78:79], v[36:37]
	v_mov_b32_e32 v65, v55
	v_pk_add_f32 v[112:113], v[112:113], v[116:117]
	v_mov_b32_e32 v49, v95
	v_mov_b32_e32 v91, v93
	;; [unrolled: 1-line block ×4, first 2 shown]
	v_pk_add_f32 v[36:37], v[66:67], v[36:37]
	v_pk_add_f32 v[64:65], v[64:65], v[68:69]
	v_mov_b32_e32 v57, v77
	v_pk_add_f32 v[48:49], v[48:49], v[108:109]
	v_pk_add_f32 v[40:41], v[90:91], v[112:113]
	;; [unrolled: 1-line block ×4, first 2 shown]
	ds_write2_b64 v221, v[32:33], v[34:35] offset1:17
	ds_write2_b64 v221, v[38:39], v[40:41] offset0:34 offset1:51
	ds_write2_b64 v221, v[50:51], v[52:53] offset0:68 offset1:85
	;; [unrolled: 1-line block ×5, first 2 shown]
	ds_write_b64 v221, v[28:29] offset:1632
	s_waitcnt lgkmcnt(0)
	s_barrier
	s_and_saveexec_b64 s[4:5], vcc
	s_cbranch_execz .LBB0_9
; %bb.8:
	global_load_dwordx2 v[36:37], v220, s[8:9] offset:1768
	s_add_u32 s6, s8, 0x6e8
	s_addc_u32 s7, s9, 0
	global_load_dwordx2 v[90:91], v220, s[6:7] offset:104
	global_load_dwordx2 v[92:93], v220, s[6:7] offset:208
	;; [unrolled: 1-line block ×15, first 2 shown]
	ds_read2_b64 v[62:65], v221 offset1:13
	ds_read2_b64 v[66:69], v221 offset0:26 offset1:39
	global_load_dwordx2 v[122:123], v220, s[6:7] offset:1664
	ds_read2_b64 v[70:73], v221 offset0:52 offset1:65
	ds_read2_b64 v[74:77], v221 offset0:78 offset1:91
	;; [unrolled: 1-line block ×5, first 2 shown]
	s_waitcnt vmcnt(13) lgkmcnt(5)
	v_mul_f32_e32 v59, v69, v95
	s_waitcnt vmcnt(12) lgkmcnt(4)
	v_mul_f32_e32 v111, v71, v97
	s_waitcnt vmcnt(11)
	v_mul_f32_e32 v126, v73, v99
	s_waitcnt vmcnt(10) lgkmcnt(3)
	v_mul_f32_e32 v127, v75, v101
	s_waitcnt vmcnt(9)
	;; [unrolled: 4-line block ×4, first 2 shown]
	v_mul_f32_e32 v132, v85, v113
	v_mul_f32_e32 v58, v63, v37
	;; [unrolled: 1-line block ×3, first 2 shown]
	v_fma_f32 v124, v62, v36, -v58
	v_fmac_f32_e32 v125, v63, v36
	v_mul_f32_e32 v36, v65, v91
	v_mul_f32_e32 v37, v64, v91
	;; [unrolled: 1-line block ×13, first 2 shown]
	v_fma_f32 v36, v64, v90, -v36
	v_fmac_f32_e32 v37, v65, v90
	v_fma_f32 v62, v66, v92, -v58
	v_fmac_f32_e32 v63, v67, v92
	;; [unrolled: 2-line block ×11, first 2 shown]
	ds_write2_b64 v221, v[124:125], v[36:37] offset1:13
	ds_write2_b64 v221, v[62:63], v[90:91] offset0:26 offset1:39
	ds_write2_b64 v221, v[92:93], v[94:95] offset0:52 offset1:65
	;; [unrolled: 1-line block ×5, first 2 shown]
	ds_read2_b64 v[62:65], v221 offset0:182 offset1:195
	s_waitcnt vmcnt(4) lgkmcnt(7)
	v_mul_f32_e32 v113, v87, v115
	v_mul_f32_e32 v109, v86, v115
	s_waitcnt vmcnt(3)
	v_mul_f32_e32 v115, v89, v117
	v_mul_f32_e32 v37, v88, v117
	v_fma_f32 v108, v86, v114, -v113
	v_fmac_f32_e32 v109, v87, v114
	v_fma_f32 v36, v88, v116, -v115
	v_fmac_f32_e32 v37, v89, v116
	ds_write2_b64 v221, v[108:109], v[36:37] offset0:156 offset1:169
	s_waitcnt vmcnt(2) lgkmcnt(1)
	v_mul_f32_e32 v36, v63, v119
	v_mul_f32_e32 v37, v62, v119
	v_fma_f32 v36, v62, v118, -v36
	v_fmac_f32_e32 v37, v63, v118
	ds_read_b64 v[62:63], v221 offset:1664
	s_waitcnt vmcnt(1)
	v_mul_f32_e32 v58, v65, v121
	v_mul_f32_e32 v67, v64, v121
	v_fma_f32 v66, v64, v120, -v58
	v_fmac_f32_e32 v67, v65, v120
	ds_write2_b64 v221, v[36:37], v[66:67] offset0:182 offset1:195
	s_waitcnt vmcnt(0) lgkmcnt(1)
	v_mul_f32_e32 v36, v63, v123
	v_mul_f32_e32 v37, v62, v123
	v_fma_f32 v36, v62, v122, -v36
	v_fmac_f32_e32 v37, v63, v122
	ds_write_b64 v221, v[36:37] offset:1664
.LBB0_9:
	s_or_b64 exec, exec, s[4:5]
	s_waitcnt lgkmcnt(0)
	s_barrier
	s_and_saveexec_b64 s[4:5], vcc
	s_cbranch_execz .LBB0_11
; %bb.10:
	ds_read2_b64 v[32:35], v221 offset1:13
	ds_read2_b64 v[38:41], v221 offset0:26 offset1:39
	ds_read2_b64 v[50:53], v221 offset0:52 offset1:65
	;; [unrolled: 1-line block ×7, first 2 shown]
	ds_read_b64 v[60:61], v221 offset:1664
.LBB0_11:
	s_or_b64 exec, exec, s[4:5]
	s_waitcnt lgkmcnt(0)
	s_barrier
	s_and_saveexec_b64 s[4:5], vcc
	s_cbranch_execz .LBB0_13
; %bb.12:
	v_pk_add_f32 v[36:37], v[34:35], v[32:33]
	v_pk_add_f32 v[154:155], v[34:35], v[60:61] neg_lo:[0,1] neg_hi:[0,1]
	v_pk_add_f32 v[36:37], v[38:39], v[36:37]
	s_mov_b32 s26, 0xbeb8f4ab
	v_pk_add_f32 v[36:37], v[40:41], v[36:37]
	v_pk_add_f32 v[152:153], v[60:61], v[34:35]
	;; [unrolled: 1-line block ×5, first 2 shown]
	v_pk_add_f32 v[150:151], v[38:39], v[18:19] neg_lo:[0,1] neg_hi:[0,1]
	v_pk_add_f32 v[36:37], v[54:55], v[36:37]
	s_mov_b32 s16, 0x3f6eb680
	v_pk_add_f32 v[36:37], v[56:57], v[36:37]
	s_mov_b32 s40, 0xbf2c7751
	v_pk_add_f32 v[36:37], v[46:47], v[36:37]
	v_pk_add_f32 v[144:145], v[16:17], v[40:41]
	v_pk_add_f32 v[36:37], v[48:49], v[36:37]
	v_pk_add_f32 v[146:147], v[40:41], v[16:17] neg_lo:[0,1] neg_hi:[0,1]
	v_pk_add_f32 v[36:37], v[42:43], v[36:37]
	v_pk_add_f32 v[136:137], v[30:31], v[50:51]
	v_pk_add_f32 v[36:37], v[44:45], v[36:37]
	v_pk_add_f32 v[142:143], v[50:51], v[30:31] neg_lo:[0,1] neg_hi:[0,1]
	;; [unrolled: 4-line block ×3, first 2 shown]
	v_pk_add_f32 v[36:37], v[16:17], v[36:37]
	s_mov_b32 s14, 0x3f3d2fb0
	v_pk_add_f32 v[36:37], v[18:19], v[36:37]
	v_pk_mul_f32 v[18:19], v[154:155], s[26:27] op_sel_hi:[1,0]
	v_pk_mul_f32 v[30:31], v[150:151], s[40:41] op_sel_hi:[1,0]
	v_pk_fma_f32 v[28:29], v[152:153], s[16:17], v[18:19] op_sel:[0,0,1] op_sel_hi:[1,0,0]
	v_pk_fma_f32 v[16:17], v[152:153], s[16:17], v[18:19] op_sel:[0,0,1] op_sel_hi:[1,0,0] neg_lo:[0,0,1] neg_hi:[0,0,1]
	v_pk_add_f32 v[62:63], v[60:61], v[36:37]
	v_accvgpr_write_b32 a1, v29
	v_mov_b32_e32 v29, v17
	v_accvgpr_write_b32 a0, v16
	v_pk_fma_f32 v[36:37], v[148:149], s[14:15], v[30:31] op_sel:[0,0,1] op_sel_hi:[1,0,0]
	v_pk_fma_f32 v[16:17], v[148:149], s[14:15], v[30:31] op_sel:[0,0,1] op_sel_hi:[1,0,0] neg_lo:[0,0,1] neg_hi:[0,0,1]
	v_pk_add_f32 v[34:35], v[32:33], v[28:29]
	v_accvgpr_write_b32 a3, v37
	v_mov_b32_e32 v37, v17
	s_mov_b32 s48, 0xbf65296c
	v_pk_add_f32 v[38:39], v[36:37], v[34:35]
	s_mov_b32 s10, 0x3ee437d1
	v_pk_mul_f32 v[36:37], v[146:147], s[48:49] op_sel_hi:[1,0]
	s_mov_b32 s38, 0xbf7ee86f
	v_pk_fma_f32 v[40:41], v[144:145], s[10:11], v[36:37] op_sel:[0,0,1] op_sel_hi:[1,0,0]
	v_pk_fma_f32 v[252:253], v[144:145], s[10:11], v[36:37] op_sel:[0,0,1] op_sel_hi:[1,0,0] neg_lo:[0,0,1] neg_hi:[0,0,1]
	v_accvgpr_write_b32 a5, v41
	v_mov_b32_e32 v41, v253
	v_pk_add_f32 v[112:113], v[42:43], v[56:57]
	v_pk_add_f32 v[114:115], v[56:57], v[42:43] neg_lo:[0,1] neg_hi:[0,1]
	v_pk_add_f32 v[42:43], v[40:41], v[38:39]
	s_mov_b32 s6, 0x3dbcf732
	v_pk_mul_f32 v[40:41], v[142:143], s[38:39] op_sel_hi:[1,0]
	v_pk_add_f32 v[116:117], v[44:45], v[54:55]
	v_pk_add_f32 v[122:123], v[54:55], v[44:45] neg_lo:[0,1] neg_hi:[0,1]
	v_pk_fma_f32 v[44:45], v[136:137], s[6:7], v[40:41] op_sel:[0,0,1] op_sel_hi:[1,0,0]
	v_pk_fma_f32 v[248:249], v[136:137], s[6:7], v[40:41] op_sel:[0,0,1] op_sel_hi:[1,0,0] neg_lo:[0,0,1] neg_hi:[0,0,1]
	v_accvgpr_write_b32 a7, v45
	v_mov_b32_e32 v45, v249
	s_mov_b32 s20, 0xbf763a35
	v_pk_add_f32 v[100:101], v[48:49], v[46:47]
	v_pk_add_f32 v[106:107], v[46:47], v[48:49] neg_lo:[0,1] neg_hi:[0,1]
	v_pk_add_f32 v[46:47], v[44:45], v[42:43]
	s_mov_b32 s18, 0xbe8c1d8e
	v_pk_mul_f32 v[44:45], v[134:135], s[20:21] op_sel_hi:[1,0]
	s_mov_b32 s24, 0xbf4c4adb
	v_pk_fma_f32 v[48:49], v[128:129], s[18:19], v[44:45] op_sel:[0,0,1] op_sel_hi:[1,0,0]
	v_pk_fma_f32 v[244:245], v[128:129], s[18:19], v[44:45] op_sel:[0,0,1] op_sel_hi:[1,0,0] neg_lo:[0,0,1] neg_hi:[0,0,1]
	v_accvgpr_write_b32 a9, v49
	v_mov_b32_e32 v49, v245
	v_pk_add_f32 v[50:51], v[48:49], v[46:47]
	s_mov_b32 s22, 0xbf1a4643
	v_pk_mul_f32 v[48:49], v[122:123], s[24:25] op_sel_hi:[1,0]
	s_mov_b32 s30, 0xbf06c442
	v_pk_fma_f32 v[52:53], v[116:117], s[22:23], v[48:49] op_sel:[0,0,1] op_sel_hi:[1,0,0]
	v_pk_fma_f32 v[240:241], v[116:117], s[22:23], v[48:49] op_sel:[0,0,1] op_sel_hi:[1,0,0] neg_lo:[0,0,1] neg_hi:[0,0,1]
	v_accvgpr_write_b32 a11, v53
	v_mov_b32_e32 v53, v241
	;; [unrolled: 8-line block ×3, first 2 shown]
	v_pk_add_f32 v[60:61], v[56:57], v[54:55]
	s_mov_b32 s34, 0xbf7ba420
	v_pk_mul_f32 v[56:57], v[106:107], s[36:37] op_sel_hi:[1,0]
	v_lshl_add_u32 v223, v110, 3, v206
	v_pk_fma_f32 v[64:65], v[100:101], s[34:35], v[56:57] op_sel:[0,0,1] op_sel_hi:[1,0,0]
	v_pk_fma_f32 v[56:57], v[100:101], s[34:35], v[56:57] op_sel:[0,0,1] op_sel_hi:[1,0,0] neg_lo:[0,0,1] neg_hi:[0,0,1]
	v_accvgpr_write_b32 a15, v65
	v_mov_b32_e32 v65, v57
	v_pk_add_f32 v[60:61], v[64:65], v[60:61]
	ds_write2_b64 v223, v[62:63], v[60:61] offset1:1
	v_pk_mul_f32 v[62:63], v[154:155], s[40:41] op_sel_hi:[1,0]
	v_pk_mul_f32 v[66:67], v[150:151], s[38:39] op_sel_hi:[1,0]
	v_pk_fma_f32 v[64:65], v[152:153], s[14:15], v[62:63] op_sel:[0,0,1] op_sel_hi:[1,0,0]
	v_pk_fma_f32 v[62:63], v[152:153], s[14:15], v[62:63] op_sel:[0,0,1] op_sel_hi:[1,0,0] neg_lo:[0,0,1] neg_hi:[0,0,1]
	v_mov_b32_e32 v195, v65
	v_mov_b32_e32 v65, v63
	v_pk_fma_f32 v[70:71], v[148:149], s[6:7], v[66:67] op_sel:[0,0,1] op_sel_hi:[1,0,0]
	v_pk_fma_f32 v[66:67], v[148:149], s[6:7], v[66:67] op_sel:[0,0,1] op_sel_hi:[1,0,0] neg_lo:[0,0,1] neg_hi:[0,0,1]
	v_pk_add_f32 v[68:69], v[32:33], v[64:65]
	v_mov_b32_e32 v241, v71
	v_mov_b32_e32 v71, v67
	v_pk_add_f32 v[72:73], v[70:71], v[68:69]
	v_pk_mul_f32 v[70:71], v[146:147], s[24:25] op_sel_hi:[1,0]
	s_mov_b32 s52, 0x3f06c442
	v_pk_fma_f32 v[74:75], v[144:145], s[22:23], v[70:71] op_sel:[0,0,1] op_sel_hi:[1,0,0]
	v_pk_fma_f32 v[70:71], v[144:145], s[22:23], v[70:71] op_sel:[0,0,1] op_sel_hi:[1,0,0] neg_lo:[0,0,1] neg_hi:[0,0,1]
	v_mov_b32_e32 v245, v75
	v_mov_b32_e32 v75, v71
	v_pk_add_f32 v[76:77], v[74:75], v[72:73]
	v_pk_mul_f32 v[74:75], v[142:143], s[36:37] op_sel_hi:[1,0]
	s_mov_b32 s50, 0x3f763a35
	v_pk_fma_f32 v[78:79], v[136:137], s[34:35], v[74:75] op_sel:[0,0,1] op_sel_hi:[1,0,0]
	v_pk_fma_f32 v[74:75], v[136:137], s[34:35], v[74:75] op_sel:[0,0,1] op_sel_hi:[1,0,0] neg_lo:[0,0,1] neg_hi:[0,0,1]
	;; [unrolled: 7-line block ×4, first 2 shown]
	v_accvgpr_write_b32 a17, v87
	v_mov_b32_e32 v87, v83
	v_pk_add_f32 v[88:89], v[86:87], v[84:85]
	v_pk_mul_f32 v[86:87], v[114:115], s[42:43] op_sel_hi:[1,0]
	v_pk_mul_f32 v[98:99], v[150:151], s[24:25] op_sel_hi:[1,0]
	v_pk_fma_f32 v[90:91], v[112:113], s[10:11], v[86:87] op_sel:[0,0,1] op_sel_hi:[1,0,0]
	v_pk_fma_f32 v[86:87], v[112:113], s[10:11], v[86:87] op_sel:[0,0,1] op_sel_hi:[1,0,0] neg_lo:[0,0,1] neg_hi:[0,0,1]
	v_accvgpr_write_b32 a19, v91
	v_mov_b32_e32 v91, v87
	v_pk_add_f32 v[92:93], v[90:91], v[88:89]
	v_pk_mul_f32 v[90:91], v[106:107], s[44:45] op_sel_hi:[1,0]
	s_mov_b32 s46, 0x3e3c28d5
	v_pk_fma_f32 v[94:95], v[100:101], s[16:17], v[90:91] op_sel:[0,0,1] op_sel_hi:[1,0,0]
	v_pk_fma_f32 v[90:91], v[100:101], s[16:17], v[90:91] op_sel:[0,0,1] op_sel_hi:[1,0,0] neg_lo:[0,0,1] neg_hi:[0,0,1]
	v_accvgpr_write_b32 a21, v95
	v_mov_b32_e32 v95, v91
	v_pk_add_f32 v[156:157], v[94:95], v[92:93]
	v_pk_mul_f32 v[94:95], v[154:155], s[48:49] op_sel_hi:[1,0]
	v_pk_mul_f32 v[162:163], v[150:151], s[36:37] op_sel_hi:[1,0]
	v_pk_fma_f32 v[92:93], v[152:153], s[10:11], v[94:95] op_sel:[0,0,1] op_sel_hi:[1,0,0]
	v_pk_fma_f32 v[94:95], v[152:153], s[10:11], v[94:95] op_sel:[0,0,1] op_sel_hi:[1,0,0] neg_lo:[0,0,1] neg_hi:[0,0,1]
	v_mov_b32_e32 v96, v92
	v_mov_b32_e32 v97, v95
	v_pk_add_f32 v[102:103], v[32:33], v[96:97]
	v_pk_fma_f32 v[96:97], v[148:149], s[22:23], v[98:99] op_sel:[0,0,1] op_sel_hi:[1,0,0]
	v_pk_fma_f32 v[98:99], v[148:149], s[22:23], v[98:99] op_sel:[0,0,1] op_sel_hi:[1,0,0] neg_lo:[0,0,1] neg_hi:[0,0,1]
	v_mov_b32_e32 v104, v96
	v_mov_b32_e32 v105, v99
	v_pk_add_f32 v[108:109], v[104:105], v[102:103]
	v_pk_mul_f32 v[104:105], v[146:147], s[46:47] op_sel_hi:[1,0]
	s_mov_b32 s46, 0x3f2c7751
	v_pk_fma_f32 v[102:103], v[144:145], s[34:35], v[104:105] op_sel:[0,0,1] op_sel_hi:[1,0,0]
	v_pk_fma_f32 v[104:105], v[144:145], s[34:35], v[104:105] op_sel:[0,0,1] op_sel_hi:[1,0,0] neg_lo:[0,0,1] neg_hi:[0,0,1]
	v_mov_b32_e32 v110, v102
	v_mov_b32_e32 v111, v105
	v_pk_add_f32 v[118:119], v[110:111], v[108:109]
	v_pk_mul_f32 v[110:111], v[142:143], s[50:51] op_sel_hi:[1,0]
	s_mov_b32 s54, 0x3f4c4adb
	v_pk_fma_f32 v[108:109], v[136:137], s[18:19], v[110:111] op_sel:[0,0,1] op_sel_hi:[1,0,0]
	v_pk_fma_f32 v[110:111], v[136:137], s[18:19], v[110:111] op_sel:[0,0,1] op_sel_hi:[1,0,0] neg_lo:[0,0,1] neg_hi:[0,0,1]
	v_mov_b32_e32 v120, v108
	v_mov_b32_e32 v121, v111
	v_pk_add_f32 v[124:125], v[120:121], v[118:119]
	v_pk_mul_f32 v[120:121], v[134:135], s[46:47] op_sel_hi:[1,0]
	v_mov_b32_e32 v57, v210
	v_pk_fma_f32 v[118:119], v[128:129], s[14:15], v[120:121] op_sel:[0,0,1] op_sel_hi:[1,0,0]
	v_pk_fma_f32 v[120:121], v[128:129], s[14:15], v[120:121] op_sel:[0,0,1] op_sel_hi:[1,0,0] neg_lo:[0,0,1] neg_hi:[0,0,1]
	v_mov_b32_e32 v126, v118
	v_mov_b32_e32 v127, v121
	v_pk_add_f32 v[130:131], v[126:127], v[124:125]
	v_pk_mul_f32 v[126:127], v[122:123], s[26:27] op_sel_hi:[1,0]
	v_pk_mul_f32 v[230:231], v[150:151], s[50:51] op_sel_hi:[1,0]
	v_pk_fma_f32 v[124:125], v[116:117], s[16:17], v[126:127] op_sel:[0,0,1] op_sel_hi:[1,0,0]
	v_pk_fma_f32 v[126:127], v[116:117], s[16:17], v[126:127] op_sel:[0,0,1] op_sel_hi:[1,0,0] neg_lo:[0,0,1] neg_hi:[0,0,1]
	v_mov_b32_e32 v132, v124
	v_mov_b32_e32 v133, v127
	v_pk_add_f32 v[138:139], v[132:133], v[130:131]
	v_pk_mul_f32 v[132:133], v[114:115], s[38:39] op_sel_hi:[1,0]
	v_pk_fma_f32 v[84:85], v[148:149], s[18:19], v[230:231] op_sel:[0,0,1] op_sel_hi:[1,0,0]
	v_pk_fma_f32 v[130:131], v[112:113], s[6:7], v[132:133] op_sel:[0,0,1] op_sel_hi:[1,0,0]
	v_pk_fma_f32 v[132:133], v[112:113], s[6:7], v[132:133] op_sel:[0,0,1] op_sel_hi:[1,0,0] neg_lo:[0,0,1] neg_hi:[0,0,1]
	v_mov_b32_e32 v140, v130
	v_mov_b32_e32 v141, v133
	v_pk_add_f32 v[158:159], v[140:141], v[138:139]
	v_pk_mul_f32 v[140:141], v[106:107], s[30:31] op_sel_hi:[1,0]
	v_pk_fma_f32 v[230:231], v[148:149], s[18:19], v[230:231] op_sel:[0,0,1] op_sel_hi:[1,0,0] neg_lo:[0,0,1] neg_hi:[0,0,1]
	v_pk_fma_f32 v[138:139], v[100:101], s[28:29], v[140:141] op_sel:[0,0,1] op_sel_hi:[1,0,0]
	v_pk_fma_f32 v[140:141], v[100:101], s[28:29], v[140:141] op_sel:[0,0,1] op_sel_hi:[1,0,0] neg_lo:[0,0,1] neg_hi:[0,0,1]
	v_mov_b32_e32 v160, v138
	v_mov_b32_e32 v161, v141
	v_pk_add_f32 v[158:159], v[160:161], v[158:159]
	ds_write2_b64 v223, v[156:157], v[158:159] offset0:2 offset1:3
	v_pk_mul_f32 v[158:159], v[154:155], s[38:39] op_sel_hi:[1,0]
	v_mov_b32_e32 v234, v84
	v_pk_fma_f32 v[156:157], v[152:153], s[6:7], v[158:159] op_sel:[0,0,1] op_sel_hi:[1,0,0]
	v_pk_fma_f32 v[158:159], v[152:153], s[6:7], v[158:159] op_sel:[0,0,1] op_sel_hi:[1,0,0] neg_lo:[0,0,1] neg_hi:[0,0,1]
	v_mov_b32_e32 v160, v156
	v_mov_b32_e32 v161, v159
	v_pk_add_f32 v[164:165], v[32:33], v[160:161]
	v_pk_fma_f32 v[160:161], v[148:149], s[34:35], v[162:163] op_sel:[0,0,1] op_sel_hi:[1,0,0]
	v_pk_fma_f32 v[162:163], v[148:149], s[34:35], v[162:163] op_sel:[0,0,1] op_sel_hi:[1,0,0] neg_lo:[0,0,1] neg_hi:[0,0,1]
	v_mov_b32_e32 v166, v160
	v_mov_b32_e32 v167, v163
	v_pk_add_f32 v[168:169], v[166:167], v[164:165]
	v_pk_mul_f32 v[166:167], v[146:147], s[50:51] op_sel_hi:[1,0]
	v_mov_b32_e32 v235, v231
	v_pk_fma_f32 v[164:165], v[144:145], s[18:19], v[166:167] op_sel:[0,0,1] op_sel_hi:[1,0,0]
	v_pk_fma_f32 v[166:167], v[144:145], s[18:19], v[166:167] op_sel:[0,0,1] op_sel_hi:[1,0,0] neg_lo:[0,0,1] neg_hi:[0,0,1]
	v_mov_b32_e32 v170, v164
	v_mov_b32_e32 v171, v167
	v_pk_add_f32 v[172:173], v[170:171], v[168:169]
	v_pk_mul_f32 v[170:171], v[142:143], s[44:45] op_sel_hi:[1,0]
	v_accvgpr_write_b32 a2, v16
	v_pk_fma_f32 v[168:169], v[136:137], s[16:17], v[170:171] op_sel:[0,0,1] op_sel_hi:[1,0,0]
	v_pk_fma_f32 v[170:171], v[136:137], s[16:17], v[170:171] op_sel:[0,0,1] op_sel_hi:[1,0,0] neg_lo:[0,0,1] neg_hi:[0,0,1]
	v_mov_b32_e32 v174, v168
	v_mov_b32_e32 v175, v171
	v_pk_add_f32 v[176:177], v[174:175], v[172:173]
	v_pk_mul_f32 v[174:175], v[134:135], s[48:49] op_sel_hi:[1,0]
	v_pk_mul_f32 v[236:237], v[150:151], s[42:43] op_sel_hi:[1,0]
	v_pk_fma_f32 v[172:173], v[128:129], s[10:11], v[174:175] op_sel:[0,0,1] op_sel_hi:[1,0,0]
	v_pk_fma_f32 v[174:175], v[128:129], s[10:11], v[174:175] op_sel:[0,0,1] op_sel_hi:[1,0,0] neg_lo:[0,0,1] neg_hi:[0,0,1]
	v_mov_b32_e32 v178, v172
	v_mov_b32_e32 v179, v175
	v_pk_add_f32 v[180:181], v[178:179], v[176:177]
	v_pk_mul_f32 v[178:179], v[122:123], s[30:31] op_sel_hi:[1,0]
	v_pk_fma_f32 v[54:55], v[148:149], s[10:11], v[236:237] op_sel:[0,0,1] op_sel_hi:[1,0,0]
	v_pk_fma_f32 v[176:177], v[116:117], s[28:29], v[178:179] op_sel:[0,0,1] op_sel_hi:[1,0,0]
	v_pk_fma_f32 v[178:179], v[116:117], s[28:29], v[178:179] op_sel:[0,0,1] op_sel_hi:[1,0,0] neg_lo:[0,0,1] neg_hi:[0,0,1]
	v_mov_b32_e32 v182, v176
	v_mov_b32_e32 v183, v179
	v_pk_add_f32 v[184:185], v[182:183], v[180:181]
	v_pk_mul_f32 v[182:183], v[114:115], s[54:55] op_sel_hi:[1,0]
	v_pk_fma_f32 v[236:237], v[148:149], s[10:11], v[236:237] op_sel:[0,0,1] op_sel_hi:[1,0,0] neg_lo:[0,0,1] neg_hi:[0,0,1]
	v_pk_fma_f32 v[180:181], v[112:113], s[22:23], v[182:183] op_sel:[0,0,1] op_sel_hi:[1,0,0]
	v_pk_fma_f32 v[182:183], v[112:113], s[22:23], v[182:183] op_sel:[0,0,1] op_sel_hi:[1,0,0] neg_lo:[0,0,1] neg_hi:[0,0,1]
	v_mov_b32_e32 v186, v180
	v_mov_b32_e32 v187, v183
	v_pk_add_f32 v[188:189], v[186:187], v[184:185]
	v_pk_mul_f32 v[186:187], v[106:107], s[46:47] op_sel_hi:[1,0]
	v_mov_b32_e32 v18, v54
	v_pk_fma_f32 v[184:185], v[100:101], s[14:15], v[186:187] op_sel:[0,0,1] op_sel_hi:[1,0,0]
	v_pk_fma_f32 v[186:187], v[100:101], s[14:15], v[186:187] op_sel:[0,0,1] op_sel_hi:[1,0,0] neg_lo:[0,0,1] neg_hi:[0,0,1]
	v_mov_b32_e32 v190, v184
	v_mov_b32_e32 v191, v187
	v_pk_add_f32 v[224:225], v[190:191], v[188:189]
	v_pk_mul_f32 v[188:189], v[154:155], s[20:21] op_sel_hi:[1,0]
	v_mov_b32_e32 v19, v237
	;; [unrolled: 7-line block ×4, first 2 shown]
	v_pk_fma_f32 v[196:197], v[144:145], s[14:15], v[198:199] op_sel:[0,0,1] op_sel_hi:[1,0,0]
	v_pk_fma_f32 v[198:199], v[144:145], s[14:15], v[198:199] op_sel:[0,0,1] op_sel_hi:[1,0,0] neg_lo:[0,0,1] neg_hi:[0,0,1]
	v_mov_b32_e32 v202, v196
	v_mov_b32_e32 v203, v199
	v_pk_add_f32 v[204:205], v[202:203], v[200:201]
	v_pk_mul_f32 v[202:203], v[142:143], s[48:49] op_sel_hi:[1,0]
	s_mov_b32 s48, 0x3f7ee86f
	v_pk_fma_f32 v[200:201], v[136:137], s[10:11], v[202:203] op_sel:[0,0,1] op_sel_hi:[1,0,0]
	v_pk_fma_f32 v[202:203], v[136:137], s[10:11], v[202:203] op_sel:[0,0,1] op_sel_hi:[1,0,0] neg_lo:[0,0,1] neg_hi:[0,0,1]
	v_mov_b32_e32 v206, v200
	v_mov_b32_e32 v207, v203
	v_pk_add_f32 v[208:209], v[206:207], v[204:205]
	v_pk_mul_f32 v[206:207], v[134:135], s[36:37] op_sel_hi:[1,0]
	v_mov_b32_e32 v231, v85
	v_pk_fma_f32 v[204:205], v[128:129], s[34:35], v[206:207] op_sel:[0,0,1] op_sel_hi:[1,0,0]
	v_pk_fma_f32 v[206:207], v[128:129], s[34:35], v[206:207] op_sel:[0,0,1] op_sel_hi:[1,0,0] neg_lo:[0,0,1] neg_hi:[0,0,1]
	v_mov_b32_e32 v210, v204
	v_mov_b32_e32 v211, v207
	v_pk_add_f32 v[212:213], v[210:211], v[208:209]
	v_pk_mul_f32 v[210:211], v[122:123], s[48:49] op_sel_hi:[1,0]
	v_mov_b32_e32 v189, v191
	;; [unrolled: 7-line block ×4, first 2 shown]
	v_pk_fma_f32 v[216:217], v[100:101], s[22:23], v[218:219] op_sel:[0,0,1] op_sel_hi:[1,0,0]
	v_pk_fma_f32 v[218:219], v[100:101], s[22:23], v[218:219] op_sel:[0,0,1] op_sel_hi:[1,0,0] neg_lo:[0,0,1] neg_hi:[0,0,1]
	v_mov_b32_e32 v228, v216
	v_mov_b32_e32 v229, v219
	v_pk_add_f32 v[226:227], v[228:229], v[226:227]
	ds_write2_b64 v223, v[224:225], v[226:227] offset0:4 offset1:5
	v_pk_mul_f32 v[224:225], v[154:155], s[24:25] op_sel_hi:[1,0]
	v_mov_b32_e32 v163, v161
	v_pk_fma_f32 v[226:227], v[152:153], s[22:23], v[224:225] op_sel:[0,0,1] op_sel_hi:[1,0,0]
	v_pk_fma_f32 v[224:225], v[152:153], s[22:23], v[224:225] op_sel:[0,0,1] op_sel_hi:[1,0,0] neg_lo:[0,0,1] neg_hi:[0,0,1]
	v_mov_b32_e32 v228, v226
	v_mov_b32_e32 v229, v225
	v_pk_add_f32 v[228:229], v[32:33], v[228:229]
	v_mov_b32_e32 v225, v227
	v_pk_add_f32 v[228:229], v[234:235], v[228:229]
	v_pk_mul_f32 v[234:235], v[146:147], s[26:27] op_sel_hi:[1,0]
	v_mov_b32_e32 v199, v197
	v_pk_fma_f32 v[80:81], v[144:145], s[16:17], v[234:235] op_sel:[0,0,1] op_sel_hi:[1,0,0]
	v_pk_fma_f32 v[234:235], v[144:145], s[16:17], v[234:235] op_sel:[0,0,1] op_sel_hi:[1,0,0] neg_lo:[0,0,1] neg_hi:[0,0,1]
	v_mov_b32_e32 v238, v80
	v_mov_b32_e32 v239, v235
	v_pk_add_f32 v[228:229], v[238:239], v[228:229]
	v_pk_mul_f32 v[238:239], v[142:143], s[30:31] op_sel_hi:[1,0]
	v_mov_b32_e32 v235, v81
	v_pk_fma_f32 v[76:77], v[136:137], s[28:29], v[238:239] op_sel:[0,0,1] op_sel_hi:[1,0,0]
	v_pk_fma_f32 v[238:239], v[136:137], s[28:29], v[238:239] op_sel:[0,0,1] op_sel_hi:[1,0,0] neg_lo:[0,0,1] neg_hi:[0,0,1]
	v_mov_b32_e32 v242, v76
	;; [unrolled: 7-line block ×7, first 2 shown]
	v_mov_b32_e32 v59, v229
	v_pk_add_f32 v[58:59], v[32:33], v[58:59]
	v_mov_b32_e32 v229, v233
	v_pk_add_f32 v[18:19], v[18:19], v[58:59]
	v_pk_mul_f32 v[58:59], v[146:147], s[38:39] op_sel_hi:[1,0]
	v_pk_mul_f32 v[146:147], v[146:147], s[30:31] op_sel_hi:[1,0]
	v_pk_fma_f32 v[52:53], v[144:145], s[6:7], v[58:59] op_sel:[0,0,1] op_sel_hi:[1,0,0]
	v_pk_fma_f32 v[58:59], v[144:145], s[6:7], v[58:59] op_sel:[0,0,1] op_sel_hi:[1,0,0] neg_lo:[0,0,1] neg_hi:[0,0,1]
	v_mov_b32_e32 v28, v52
	v_mov_b32_e32 v29, v59
	v_pk_add_f32 v[18:19], v[28:29], v[18:19]
	v_pk_mul_f32 v[28:29], v[142:143], s[54:55] op_sel_hi:[1,0]
	v_pk_mul_f32 v[142:143], v[142:143], s[46:47] op_sel_hi:[1,0]
	v_pk_fma_f32 v[50:51], v[136:137], s[22:23], v[28:29] op_sel:[0,0,1] op_sel_hi:[1,0,0]
	v_pk_fma_f32 v[28:29], v[136:137], s[22:23], v[28:29] op_sel:[0,0,1] op_sel_hi:[1,0,0] neg_lo:[0,0,1] neg_hi:[0,0,1]
	v_mov_b32_e32 v30, v50
	;; [unrolled: 7-line block ×6, first 2 shown]
	v_mov_b32_e32 v41, v39
	v_pk_add_f32 v[18:19], v[40:41], v[18:19]
	ds_write2_b64 v223, v[16:17], v[18:19] offset0:6 offset1:7
	v_pk_mul_f32 v[16:17], v[154:155], s[36:37] op_sel_hi:[1,0]
	v_pk_mul_f32 v[40:41], v[150:151], s[44:45] op_sel_hi:[1,0]
	v_pk_fma_f32 v[18:19], v[152:153], s[34:35], v[16:17] op_sel:[0,0,1] op_sel_hi:[1,0,0]
	v_pk_fma_f32 v[16:17], v[152:153], s[34:35], v[16:17] op_sel:[0,0,1] op_sel_hi:[1,0,0] neg_lo:[0,0,1] neg_hi:[0,0,1]
	v_pk_fma_f32 v[150:151], v[148:149], s[16:17], v[40:41] op_sel:[0,0,1] op_sel_hi:[1,0,0]
	v_pk_fma_f32 v[40:41], v[148:149], s[16:17], v[40:41] op_sel:[0,0,1] op_sel_hi:[1,0,0] neg_lo:[0,0,1] neg_hi:[0,0,1]
	v_mov_b32_e32 v148, v18
	v_mov_b32_e32 v149, v17
	v_pk_add_f32 v[148:149], v[32:33], v[148:149]
	v_mov_b32_e32 v152, v150
	v_mov_b32_e32 v153, v41
	v_pk_add_f32 v[148:149], v[152:153], v[148:149]
	v_pk_fma_f32 v[152:153], v[144:145], s[28:29], v[146:147] op_sel:[0,0,1] op_sel_hi:[1,0,0]
	v_pk_fma_f32 v[144:145], v[144:145], s[28:29], v[146:147] op_sel:[0,0,1] op_sel_hi:[1,0,0] neg_lo:[0,0,1] neg_hi:[0,0,1]
	v_mov_b32_e32 v146, v152
	v_mov_b32_e32 v147, v145
	v_pk_add_f32 v[146:147], v[146:147], v[148:149]
	v_pk_fma_f32 v[148:149], v[136:137], s[14:15], v[142:143] op_sel:[0,0,1] op_sel_hi:[1,0,0]
	v_pk_fma_f32 v[136:137], v[136:137], s[14:15], v[142:143] op_sel:[0,0,1] op_sel_hi:[1,0,0] neg_lo:[0,0,1] neg_hi:[0,0,1]
	;; [unrolled: 5-line block ×3, first 2 shown]
	v_mov_b32_e32 v17, v19
	v_mov_b32_e32 v134, v146
	v_mov_b32_e32 v135, v129
	v_mov_b32_e32 v41, v151
	v_pk_add_f32 v[16:17], v[32:33], v[16:17]
	v_pk_add_f32 v[134:135], v[134:135], v[142:143]
	v_pk_fma_f32 v[142:143], v[116:117], s[10:11], v[122:123] op_sel:[0,0,1] op_sel_hi:[1,0,0]
	v_pk_fma_f32 v[116:117], v[116:117], s[10:11], v[122:123] op_sel:[0,0,1] op_sel_hi:[1,0,0] neg_lo:[0,0,1] neg_hi:[0,0,1]
	v_pk_add_f32 v[16:17], v[40:41], v[16:17]
	v_mov_b32_e32 v145, v153
	v_mov_b32_e32 v122, v142
	v_mov_b32_e32 v123, v117
	v_pk_add_f32 v[16:17], v[144:145], v[16:17]
	v_mov_b32_e32 v137, v149
	v_pk_add_f32 v[122:123], v[122:123], v[134:135]
	v_pk_fma_f32 v[134:135], v[112:113], s[18:19], v[114:115] op_sel:[0,0,1] op_sel_hi:[1,0,0]
	v_pk_fma_f32 v[112:113], v[112:113], s[18:19], v[114:115] op_sel:[0,0,1] op_sel_hi:[1,0,0] neg_lo:[0,0,1] neg_hi:[0,0,1]
	v_pk_add_f32 v[16:17], v[136:137], v[16:17]
	v_mov_b32_e32 v129, v147
	v_mov_b32_e32 v114, v134
	v_mov_b32_e32 v115, v113
	v_pk_add_f32 v[16:17], v[128:129], v[16:17]
	v_mov_b32_e32 v117, v143
	;; [unrolled: 9-line block ×3, first 2 shown]
	v_pk_add_f32 v[106:107], v[106:107], v[114:115]
	v_pk_add_f32 v[16:17], v[100:101], v[16:17]
	ds_write2_b64 v223, v[106:107], v[16:17] offset0:8 offset1:9
	v_pk_add_f32 v[16:17], v[32:33], v[228:229]
	v_pk_add_f32 v[18:19], v[32:33], v[224:225]
	v_pk_add_f32 v[16:17], v[236:237], v[16:17]
	v_mov_b32_e32 v59, v53
	v_pk_add_f32 v[18:19], v[230:231], v[18:19]
	v_pk_add_f32 v[16:17], v[58:59], v[16:17]
	v_mov_b32_e32 v29, v51
	v_pk_add_f32 v[18:19], v[234:235], v[18:19]
	v_pk_add_f32 v[16:17], v[28:29], v[16:17]
	;; [unrolled: 3-line block ×6, first 2 shown]
	v_pk_add_f32 v[18:19], v[254:255], v[18:19]
	ds_write2_b64 v223, v[16:17], v[18:19] offset0:10 offset1:11
	v_pk_add_f32 v[16:17], v[32:33], v[188:189]
	v_pk_add_f32 v[18:19], v[32:33], v[158:159]
	;; [unrolled: 1-line block ×4, first 2 shown]
	v_mov_b32_e32 v167, v165
	v_pk_add_f32 v[16:17], v[198:199], v[16:17]
	v_mov_b32_e32 v203, v201
	v_pk_add_f32 v[18:19], v[166:167], v[18:19]
	;; [unrolled: 2-line block ×11, first 2 shown]
	v_pk_add_f32 v[18:19], v[186:187], v[18:19]
	v_mov_b32_e32 v95, v93
	v_mov_b32_e32 v63, v195
	ds_write2_b64 v223, v[16:17], v[18:19] offset0:12 offset1:13
	v_pk_add_f32 v[16:17], v[32:33], v[94:95]
	v_mov_b32_e32 v99, v97
	v_pk_add_f32 v[18:19], v[32:33], v[62:63]
	v_mov_b32_e32 v67, v241
	;; [unrolled: 2-line block ×9, first 2 shown]
	v_pk_add_f32 v[18:19], v[78:79], v[18:19]
	v_accvgpr_read_b32 v83, a17
	v_pk_add_f32 v[16:17], v[126:127], v[16:17]
	v_mov_b32_e32 v133, v131
	v_pk_add_f32 v[18:19], v[82:83], v[18:19]
	v_accvgpr_read_b32 v87, a19
	v_pk_add_f32 v[16:17], v[132:133], v[16:17]
	v_mov_b32_e32 v141, v139
	v_pk_add_f32 v[18:19], v[86:87], v[18:19]
	v_accvgpr_read_b32 v91, a21
	v_pk_add_f32 v[16:17], v[140:141], v[16:17]
	v_pk_add_f32 v[18:19], v[90:91], v[18:19]
	ds_write2_b64 v223, v[16:17], v[18:19] offset0:14 offset1:15
	v_accvgpr_read_b32 v16, a0
	v_accvgpr_read_b32 v17, a1
	v_pk_add_f32 v[16:17], v[32:33], v[16:17]
	v_accvgpr_read_b32 v18, a2
	v_accvgpr_read_b32 v19, a3
	v_pk_add_f32 v[16:17], v[18:19], v[16:17]
	v_accvgpr_read_b32 v253, a5
	v_pk_add_f32 v[16:17], v[252:253], v[16:17]
	;; [unrolled: 2-line block ×5, first 2 shown]
	v_accvgpr_read_b32 v195, a13
	v_mov_b32_e32 v210, v57
	v_pk_add_f32 v[16:17], v[194:195], v[16:17]
	v_accvgpr_read_b32 v57, a15
	v_mov_b32_e32 v212, v88
	v_pk_add_f32 v[16:17], v[56:57], v[16:17]
	ds_write_b64 v223, v[16:17] offset:128
.LBB0_13:
	s_or_b64 exec, exec, s[4:5]
	s_waitcnt lgkmcnt(0)
	s_barrier
	ds_read2_b64 v[16:19], v222 offset1:17
	ds_read2_b64 v[28:31], v222 offset0:68 offset1:85
	ds_read2_b64 v[32:35], v222 offset0:102 offset1:119
	;; [unrolled: 1-line block ×4, first 2 shown]
	ds_read_b64 v[44:45], v222 offset:1632
	s_waitcnt lgkmcnt(4)
	v_pk_mul_f32 v[46:47], v[2:3], v[28:29] op_sel:[1,0]
	s_mov_b32 s6, 0xbeedf032
	v_pk_fma_f32 v[48:49], v[2:3], v[28:29], v[46:47] op_sel:[0,0,1] op_sel_hi:[1,1,0]
	v_pk_fma_f32 v[2:3], v[2:3], v[28:29], v[46:47] op_sel:[0,0,1] op_sel_hi:[0,1,0] neg_lo:[0,0,1] neg_hi:[0,0,1]
	v_mov_b32_e32 v49, v3
	v_pk_mul_f32 v[2:3], v[12:13], v[30:31] op_sel:[1,0]
	s_mov_b32 s4, 0x3f62ad3f
	v_pk_fma_f32 v[28:29], v[12:13], v[30:31], v[2:3] op_sel:[0,0,1] op_sel_hi:[1,1,0]
	v_pk_fma_f32 v[2:3], v[12:13], v[30:31], v[2:3] op_sel:[0,0,1] op_sel_hi:[0,1,0] neg_lo:[0,0,1] neg_hi:[0,0,1]
	v_mov_b32_e32 v29, v3
	s_waitcnt lgkmcnt(3)
	v_pk_mul_f32 v[2:3], v[14:15], v[32:33] op_sel:[1,0]
	s_mov_b32 s22, 0xbf52af12
	v_pk_fma_f32 v[30:31], v[14:15], v[32:33], v[2:3] op_sel:[0,0,1] op_sel_hi:[1,1,0]
	v_pk_fma_f32 v[2:3], v[14:15], v[32:33], v[2:3] op_sel:[0,0,1] op_sel_hi:[0,1,0] neg_lo:[0,0,1] neg_hi:[0,0,1]
	v_mov_b32_e32 v31, v3
	v_pk_mul_f32 v[2:3], v[8:9], v[34:35] op_sel:[1,0]
	s_mov_b32 s30, 0xbf7e222b
	v_pk_fma_f32 v[32:33], v[8:9], v[34:35], v[2:3] op_sel:[0,0,1] op_sel_hi:[1,1,0]
	v_pk_fma_f32 v[2:3], v[8:9], v[34:35], v[2:3] op_sel:[0,0,1] op_sel_hi:[0,1,0] neg_lo:[0,0,1] neg_hi:[0,0,1]
	v_mov_b32_e32 v33, v3
	s_waitcnt lgkmcnt(2)
	v_pk_mul_f32 v[2:3], v[10:11], v[36:37] op_sel:[1,0]
	s_mov_b32 s10, 0x3df6dbef
	v_pk_fma_f32 v[34:35], v[10:11], v[36:37], v[2:3] op_sel:[0,0,1] op_sel_hi:[1,1,0]
	v_pk_fma_f32 v[2:3], v[10:11], v[36:37], v[2:3] op_sel:[0,0,1] op_sel_hi:[0,1,0] neg_lo:[0,0,1] neg_hi:[0,0,1]
	v_mov_b32_e32 v35, v3
	v_pk_mul_f32 v[2:3], v[24:25], v[38:39] op_sel:[1,0]
	ds_read2_b64 v[8:11], v222 offset0:34 offset1:51
	v_pk_fma_f32 v[12:13], v[24:25], v[38:39], v[2:3] op_sel:[0,0,1] op_sel_hi:[1,1,0]
	v_pk_fma_f32 v[2:3], v[24:25], v[38:39], v[2:3] op_sel:[0,0,1] op_sel_hi:[0,1,0] neg_lo:[0,0,1] neg_hi:[0,0,1]
	v_mov_b32_e32 v13, v3
	s_waitcnt lgkmcnt(2)
	v_pk_mul_f32 v[2:3], v[26:27], v[40:41] op_sel:[1,0]
	v_pk_add_f32 v[56:57], v[48:49], v[12:13]
	v_pk_fma_f32 v[14:15], v[26:27], v[40:41], v[2:3] op_sel:[0,0,1] op_sel_hi:[1,1,0]
	v_pk_fma_f32 v[2:3], v[26:27], v[40:41], v[2:3] op_sel:[0,0,1] op_sel_hi:[0,1,0] neg_lo:[0,0,1] neg_hi:[0,0,1]
	v_mov_b32_e32 v15, v3
	v_pk_mul_f32 v[2:3], v[20:21], v[42:43] op_sel:[1,0]
	s_mov_b32 s16, 0xbf6f5d39
	v_pk_fma_f32 v[24:25], v[20:21], v[42:43], v[2:3] op_sel:[0,0,1] op_sel_hi:[1,1,0]
	v_pk_fma_f32 v[2:3], v[20:21], v[42:43], v[2:3] op_sel:[0,0,1] op_sel_hi:[0,1,0] neg_lo:[0,0,1] neg_hi:[0,0,1]
	v_mov_b32_e32 v25, v3
	s_waitcnt lgkmcnt(1)
	v_pk_mul_f32 v[2:3], v[22:23], v[44:45] op_sel:[1,0]
	s_mov_b32 s14, 0xbeb58ec6
	v_pk_fma_f32 v[20:21], v[22:23], v[44:45], v[2:3] op_sel:[0,0,1] op_sel_hi:[1,1,0]
	v_pk_fma_f32 v[2:3], v[22:23], v[44:45], v[2:3] op_sel:[0,0,1] op_sel_hi:[0,1,0] neg_lo:[0,0,1] neg_hi:[0,0,1]
	v_mov_b32_e32 v21, v3
	v_pk_mul_f32 v[2:3], v[4:5], v[18:19] op_sel:[1,0]
	v_pk_add_f32 v[60:61], v[28:29], v[34:35] neg_lo:[0,1] neg_hi:[0,1]
	v_pk_fma_f32 v[22:23], v[4:5], v[18:19], v[2:3] op_sel:[0,0,1] op_sel_hi:[1,1,0]
	v_pk_fma_f32 v[2:3], v[4:5], v[18:19], v[2:3] op_sel:[0,0,1] op_sel_hi:[0,1,0] neg_lo:[0,0,1] neg_hi:[0,0,1]
	v_mov_b32_e32 v23, v3
	s_waitcnt lgkmcnt(0)
	v_pk_mul_f32 v[2:3], v[6:7], v[8:9] op_sel:[1,0]
	v_pk_add_f32 v[44:45], v[22:23], v[20:21] neg_lo:[0,1] neg_hi:[0,1]
	v_pk_fma_f32 v[4:5], v[6:7], v[8:9], v[2:3] op_sel:[0,0,1] op_sel_hi:[1,1,0]
	v_pk_fma_f32 v[2:3], v[6:7], v[8:9], v[2:3] op_sel:[0,0,1] op_sel_hi:[0,1,0] neg_lo:[0,0,1] neg_hi:[0,0,1]
	v_mov_b32_e32 v5, v3
	v_pk_mul_f32 v[2:3], v[0:1], v[10:11] op_sel:[1,0]
	v_pk_add_f32 v[42:43], v[22:23], v[20:21]
	v_pk_fma_f32 v[8:9], v[0:1], v[10:11], v[2:3] op_sel:[0,0,1] op_sel_hi:[1,1,0]
	v_pk_fma_f32 v[0:1], v[0:1], v[10:11], v[2:3] op_sel:[0,0,1] op_sel_hi:[0,1,0] neg_lo:[0,0,1] neg_hi:[0,0,1]
	v_mov_b32_e32 v9, v1
	v_pk_add_f32 v[0:1], v[16:17], v[22:23]
	v_pk_mul_f32 v[2:3], v[44:45], s[6:7] op_sel_hi:[1,0]
	v_pk_add_f32 v[0:1], v[0:1], v[4:5]
	v_pk_add_f32 v[50:51], v[4:5], v[24:25] neg_lo:[0,1] neg_hi:[0,1]
	v_pk_add_f32 v[0:1], v[0:1], v[8:9]
	v_pk_add_f32 v[46:47], v[4:5], v[24:25]
	;; [unrolled: 1-line block ×3, first 2 shown]
	s_mov_b32 s6, 0x3f116cb1
	v_pk_add_f32 v[0:1], v[0:1], v[28:29]
	v_pk_add_f32 v[54:55], v[8:9], v[14:15] neg_lo:[0,1] neg_hi:[0,1]
	v_pk_add_f32 v[0:1], v[0:1], v[30:31]
	v_pk_add_f32 v[52:53], v[8:9], v[14:15]
	;; [unrolled: 1-line block ×3, first 2 shown]
	v_pk_add_f32 v[48:49], v[48:49], v[12:13] neg_lo:[0,1] neg_hi:[0,1]
	v_pk_add_f32 v[0:1], v[0:1], v[34:35]
	s_mov_b32 s20, 0xbf29c268
	v_pk_add_f32 v[0:1], v[0:1], v[12:13]
	v_pk_add_f32 v[58:59], v[28:29], v[34:35]
	v_pk_add_f32 v[0:1], v[0:1], v[14:15]
	s_mov_b32 s18, 0xbf3f9e67
	v_pk_add_f32 v[0:1], v[0:1], v[24:25]
	v_pk_add_f32 v[64:65], v[30:31], v[32:33] neg_lo:[0,1] neg_hi:[0,1]
	v_pk_add_f32 v[26:27], v[0:1], v[20:21]
	v_pk_fma_f32 v[0:1], v[42:43], s[4:5], v[2:3] op_sel:[0,0,1] op_sel_hi:[1,0,0]
	v_pk_fma_f32 v[2:3], v[42:43], s[4:5], v[2:3] op_sel:[0,0,1] op_sel_hi:[1,0,0] neg_lo:[0,0,1] neg_hi:[0,0,1]
	v_mov_b32_e32 v6, v0
	v_mov_b32_e32 v7, v3
	v_pk_add_f32 v[10:11], v[16:17], v[6:7]
	v_pk_mul_f32 v[6:7], v[50:51], s[22:23] op_sel_hi:[1,0]
	s_mov_b32 s26, 0xbe750f2a
	v_pk_fma_f32 v[4:5], v[46:47], s[6:7], v[6:7] op_sel:[0,0,1] op_sel_hi:[1,0,0]
	v_pk_fma_f32 v[6:7], v[46:47], s[6:7], v[6:7] op_sel:[0,0,1] op_sel_hi:[1,0,0] neg_lo:[0,0,1] neg_hi:[0,0,1]
	v_mov_b32_e32 v18, v4
	v_mov_b32_e32 v19, v7
	v_pk_add_f32 v[18:19], v[18:19], v[10:11]
	v_pk_mul_f32 v[10:11], v[54:55], s[30:31] op_sel_hi:[1,0]
	v_pk_add_f32 v[62:63], v[30:31], v[32:33]
	v_pk_fma_f32 v[8:9], v[52:53], s[10:11], v[10:11] op_sel:[0,0,1] op_sel_hi:[1,0,0]
	v_pk_fma_f32 v[10:11], v[52:53], s[10:11], v[10:11] op_sel:[0,0,1] op_sel_hi:[1,0,0] neg_lo:[0,0,1] neg_hi:[0,0,1]
	v_mov_b32_e32 v14, v8
	v_mov_b32_e32 v15, v11
	v_pk_add_f32 v[18:19], v[14:15], v[18:19]
	v_pk_mul_f32 v[14:15], v[48:49], s[16:17] op_sel_hi:[1,0]
	s_mov_b32 s24, 0xbf788fa5
	v_pk_fma_f32 v[12:13], v[56:57], s[14:15], v[14:15] op_sel:[0,0,1] op_sel_hi:[1,0,0]
	v_pk_fma_f32 v[14:15], v[56:57], s[14:15], v[14:15] op_sel:[0,0,1] op_sel_hi:[1,0,0] neg_lo:[0,0,1] neg_hi:[0,0,1]
	v_mov_b32_e32 v20, v12
	v_mov_b32_e32 v21, v15
	v_pk_add_f32 v[22:23], v[20:21], v[18:19]
	v_pk_mul_f32 v[20:21], v[60:61], s[20:21] op_sel_hi:[1,0]
	v_pk_mul_f32 v[32:33], v[50:51], s[16:17] op_sel_hi:[1,0]
	v_pk_fma_f32 v[18:19], v[58:59], s[18:19], v[20:21] op_sel:[0,0,1] op_sel_hi:[1,0,0]
	v_pk_fma_f32 v[20:21], v[58:59], s[18:19], v[20:21] op_sel:[0,0,1] op_sel_hi:[1,0,0] neg_lo:[0,0,1] neg_hi:[0,0,1]
	v_mov_b32_e32 v24, v18
	v_mov_b32_e32 v25, v21
	v_pk_add_f32 v[28:29], v[24:25], v[22:23]
	v_pk_mul_f32 v[24:25], v[64:65], s[26:27] op_sel_hi:[1,0]
	s_mov_b32 s36, 0x3f29c268
	v_pk_fma_f32 v[22:23], v[62:63], s[24:25], v[24:25] op_sel:[0,0,1] op_sel_hi:[1,0,0]
	v_pk_fma_f32 v[24:25], v[62:63], s[24:25], v[24:25] op_sel:[0,0,1] op_sel_hi:[1,0,0] neg_lo:[0,0,1] neg_hi:[0,0,1]
	v_mov_b32_e32 v30, v22
	v_mov_b32_e32 v31, v25
	v_pk_add_f32 v[28:29], v[30:31], v[28:29]
	ds_write2_b64 v221, v[26:27], v[28:29] offset1:17
	v_pk_mul_f32 v[28:29], v[44:45], s[22:23] op_sel_hi:[1,0]
	s_mov_b32 s28, 0x3f7e222b
	v_pk_fma_f32 v[26:27], v[42:43], s[6:7], v[28:29] op_sel:[0,0,1] op_sel_hi:[1,0,0]
	v_pk_fma_f32 v[28:29], v[42:43], s[6:7], v[28:29] op_sel:[0,0,1] op_sel_hi:[1,0,0] neg_lo:[0,0,1] neg_hi:[0,0,1]
	v_mov_b32_e32 v30, v26
	v_mov_b32_e32 v31, v29
	v_pk_add_f32 v[34:35], v[16:17], v[30:31]
	v_pk_fma_f32 v[30:31], v[46:47], s[14:15], v[32:33] op_sel:[0,0,1] op_sel_hi:[1,0,0]
	v_pk_fma_f32 v[32:33], v[46:47], s[14:15], v[32:33] op_sel:[0,0,1] op_sel_hi:[1,0,0] neg_lo:[0,0,1] neg_hi:[0,0,1]
	v_mov_b32_e32 v36, v30
	v_mov_b32_e32 v37, v33
	v_pk_add_f32 v[38:39], v[36:37], v[34:35]
	v_pk_mul_f32 v[36:37], v[54:55], s[26:27] op_sel_hi:[1,0]
	s_mov_b32 s34, 0x3eedf032
	v_pk_fma_f32 v[34:35], v[52:53], s[24:25], v[36:37] op_sel:[0,0,1] op_sel_hi:[1,0,0]
	v_pk_fma_f32 v[36:37], v[52:53], s[24:25], v[36:37] op_sel:[0,0,1] op_sel_hi:[1,0,0] neg_lo:[0,0,1] neg_hi:[0,0,1]
	v_mov_b32_e32 v40, v34
	v_mov_b32_e32 v41, v37
	v_pk_add_f32 v[66:67], v[40:41], v[38:39]
	v_pk_mul_f32 v[40:41], v[48:49], s[36:37] op_sel_hi:[1,0]
	v_pk_mul_f32 v[82:83], v[50:51], s[26:27] op_sel_hi:[1,0]
	v_pk_fma_f32 v[38:39], v[56:57], s[18:19], v[40:41] op_sel:[0,0,1] op_sel_hi:[1,0,0]
	v_pk_fma_f32 v[40:41], v[56:57], s[18:19], v[40:41] op_sel:[0,0,1] op_sel_hi:[1,0,0] neg_lo:[0,0,1] neg_hi:[0,0,1]
	v_mov_b32_e32 v68, v38
	v_mov_b32_e32 v69, v41
	v_pk_add_f32 v[66:67], v[68:69], v[66:67]
	v_pk_mul_f32 v[68:69], v[60:61], s[28:29] op_sel_hi:[1,0]
	v_pk_fma_f32 v[84:85], v[46:47], s[24:25], v[82:83] op_sel:[0,0,1] op_sel_hi:[1,0,0]
	v_pk_fma_f32 v[70:71], v[58:59], s[10:11], v[68:69] op_sel:[0,0,1] op_sel_hi:[1,0,0]
	v_pk_fma_f32 v[68:69], v[58:59], s[10:11], v[68:69] op_sel:[0,0,1] op_sel_hi:[1,0,0] neg_lo:[0,0,1] neg_hi:[0,0,1]
	v_mov_b32_e32 v72, v70
	v_mov_b32_e32 v73, v69
	v_pk_add_f32 v[66:67], v[72:73], v[66:67]
	v_pk_mul_f32 v[72:73], v[64:65], s[34:35] op_sel_hi:[1,0]
	v_pk_fma_f32 v[82:83], v[46:47], s[24:25], v[82:83] op_sel:[0,0,1] op_sel_hi:[1,0,0] neg_lo:[0,0,1] neg_hi:[0,0,1]
	v_pk_fma_f32 v[74:75], v[62:63], s[4:5], v[72:73] op_sel:[0,0,1] op_sel_hi:[1,0,0]
	v_pk_fma_f32 v[72:73], v[62:63], s[4:5], v[72:73] op_sel:[0,0,1] op_sel_hi:[1,0,0] neg_lo:[0,0,1] neg_hi:[0,0,1]
	v_mov_b32_e32 v76, v74
	v_mov_b32_e32 v77, v73
	v_pk_add_f32 v[66:67], v[76:77], v[66:67]
	v_pk_mul_f32 v[76:77], v[44:45], s[30:31] op_sel_hi:[1,0]
	v_mov_b32_e32 v86, v84
	v_pk_fma_f32 v[78:79], v[42:43], s[10:11], v[76:77] op_sel:[0,0,1] op_sel_hi:[1,0,0]
	v_pk_fma_f32 v[76:77], v[42:43], s[10:11], v[76:77] op_sel:[0,0,1] op_sel_hi:[1,0,0] neg_lo:[0,0,1] neg_hi:[0,0,1]
	v_mov_b32_e32 v80, v78
	v_mov_b32_e32 v81, v77
	v_pk_add_f32 v[80:81], v[16:17], v[80:81]
	v_mov_b32_e32 v87, v83
	s_mov_b32 s38, 0x3f6f5d39
	v_pk_add_f32 v[80:81], v[86:87], v[80:81]
	v_pk_mul_f32 v[86:87], v[54:55], s[38:39] op_sel_hi:[1,0]
	v_pk_mul_f32 v[104:105], v[50:51], s[36:37] op_sel_hi:[1,0]
	v_pk_fma_f32 v[88:89], v[52:53], s[14:15], v[86:87] op_sel:[0,0,1] op_sel_hi:[1,0,0]
	v_pk_fma_f32 v[86:87], v[52:53], s[14:15], v[86:87] op_sel:[0,0,1] op_sel_hi:[1,0,0] neg_lo:[0,0,1] neg_hi:[0,0,1]
	v_mov_b32_e32 v90, v88
	v_mov_b32_e32 v91, v87
	v_pk_add_f32 v[80:81], v[90:91], v[80:81]
	v_pk_mul_f32 v[90:91], v[48:49], s[34:35] op_sel_hi:[1,0]
	v_pk_fma_f32 v[106:107], v[46:47], s[18:19], v[104:105] op_sel:[0,0,1] op_sel_hi:[1,0,0]
	v_pk_fma_f32 v[92:93], v[56:57], s[4:5], v[90:91] op_sel:[0,0,1] op_sel_hi:[1,0,0]
	v_pk_fma_f32 v[90:91], v[56:57], s[4:5], v[90:91] op_sel:[0,0,1] op_sel_hi:[1,0,0] neg_lo:[0,0,1] neg_hi:[0,0,1]
	v_mov_b32_e32 v94, v92
	v_mov_b32_e32 v95, v91
	v_pk_add_f32 v[80:81], v[94:95], v[80:81]
	v_pk_mul_f32 v[94:95], v[60:61], s[22:23] op_sel_hi:[1,0]
	v_pk_fma_f32 v[104:105], v[46:47], s[18:19], v[104:105] op_sel:[0,0,1] op_sel_hi:[1,0,0] neg_lo:[0,0,1] neg_hi:[0,0,1]
	v_pk_fma_f32 v[96:97], v[58:59], s[6:7], v[94:95] op_sel:[0,0,1] op_sel_hi:[1,0,0]
	v_pk_fma_f32 v[94:95], v[58:59], s[6:7], v[94:95] op_sel:[0,0,1] op_sel_hi:[1,0,0] neg_lo:[0,0,1] neg_hi:[0,0,1]
	v_mov_b32_e32 v98, v96
	v_mov_b32_e32 v99, v95
	v_pk_add_f32 v[80:81], v[98:99], v[80:81]
	v_pk_mul_f32 v[98:99], v[64:65], s[20:21] op_sel_hi:[1,0]
	v_mov_b32_e32 v108, v106
	v_pk_fma_f32 v[100:101], v[62:63], s[18:19], v[98:99] op_sel:[0,0,1] op_sel_hi:[1,0,0]
	v_pk_fma_f32 v[98:99], v[62:63], s[18:19], v[98:99] op_sel:[0,0,1] op_sel_hi:[1,0,0] neg_lo:[0,0,1] neg_hi:[0,0,1]
	v_mov_b32_e32 v102, v100
	v_mov_b32_e32 v103, v99
	v_pk_add_f32 v[80:81], v[102:103], v[80:81]
	ds_write2_b64 v221, v[66:67], v[80:81] offset0:34 offset1:51
	v_pk_mul_f32 v[66:67], v[44:45], s[16:17] op_sel_hi:[1,0]
	v_mov_b32_e32 v109, v105
	v_pk_fma_f32 v[80:81], v[42:43], s[14:15], v[66:67] op_sel:[0,0,1] op_sel_hi:[1,0,0]
	v_pk_fma_f32 v[66:67], v[42:43], s[14:15], v[66:67] op_sel:[0,0,1] op_sel_hi:[1,0,0] neg_lo:[0,0,1] neg_hi:[0,0,1]
	v_mov_b32_e32 v102, v80
	v_mov_b32_e32 v103, v67
	v_pk_add_f32 v[102:103], v[16:17], v[102:103]
	s_mov_b32 s36, 0x3f52af12
	v_pk_add_f32 v[102:103], v[108:109], v[102:103]
	v_pk_mul_f32 v[108:109], v[54:55], s[34:35] op_sel_hi:[1,0]
	v_pk_mul_f32 v[130:131], v[50:51], s[28:29] op_sel_hi:[1,0]
	v_pk_fma_f32 v[110:111], v[52:53], s[4:5], v[108:109] op_sel:[0,0,1] op_sel_hi:[1,0,0]
	v_pk_fma_f32 v[108:109], v[52:53], s[4:5], v[108:109] op_sel:[0,0,1] op_sel_hi:[1,0,0] neg_lo:[0,0,1] neg_hi:[0,0,1]
	v_mov_b32_e32 v112, v110
	v_mov_b32_e32 v113, v109
	v_pk_add_f32 v[102:103], v[112:113], v[102:103]
	v_pk_mul_f32 v[112:113], v[48:49], s[30:31] op_sel_hi:[1,0]
	s_mov_b32 s30, 0x3e750f2a
	v_pk_fma_f32 v[114:115], v[56:57], s[10:11], v[112:113] op_sel:[0,0,1] op_sel_hi:[1,0,0]
	v_pk_fma_f32 v[112:113], v[56:57], s[10:11], v[112:113] op_sel:[0,0,1] op_sel_hi:[1,0,0] neg_lo:[0,0,1] neg_hi:[0,0,1]
	v_mov_b32_e32 v116, v114
	v_mov_b32_e32 v117, v113
	v_pk_add_f32 v[102:103], v[116:117], v[102:103]
	v_pk_mul_f32 v[116:117], v[60:61], s[30:31] op_sel_hi:[1,0]
	v_pk_fma_f32 v[132:133], v[46:47], s[10:11], v[130:131] op_sel:[0,0,1] op_sel_hi:[1,0,0]
	v_pk_fma_f32 v[118:119], v[58:59], s[24:25], v[116:117] op_sel:[0,0,1] op_sel_hi:[1,0,0]
	v_pk_fma_f32 v[116:117], v[58:59], s[24:25], v[116:117] op_sel:[0,0,1] op_sel_hi:[1,0,0] neg_lo:[0,0,1] neg_hi:[0,0,1]
	v_mov_b32_e32 v120, v118
	v_mov_b32_e32 v121, v117
	v_pk_add_f32 v[102:103], v[120:121], v[102:103]
	v_pk_mul_f32 v[120:121], v[64:65], s[36:37] op_sel_hi:[1,0]
	v_pk_fma_f32 v[130:131], v[46:47], s[10:11], v[130:131] op_sel:[0,0,1] op_sel_hi:[1,0,0] neg_lo:[0,0,1] neg_hi:[0,0,1]
	v_pk_fma_f32 v[122:123], v[62:63], s[6:7], v[120:121] op_sel:[0,0,1] op_sel_hi:[1,0,0]
	v_pk_fma_f32 v[120:121], v[62:63], s[6:7], v[120:121] op_sel:[0,0,1] op_sel_hi:[1,0,0] neg_lo:[0,0,1] neg_hi:[0,0,1]
	v_mov_b32_e32 v124, v122
	v_mov_b32_e32 v125, v121
	v_pk_add_f32 v[102:103], v[124:125], v[102:103]
	v_pk_mul_f32 v[124:125], v[44:45], s[20:21] op_sel_hi:[1,0]
	v_mov_b32_e32 v134, v132
	v_pk_fma_f32 v[126:127], v[42:43], s[18:19], v[124:125] op_sel:[0,0,1] op_sel_hi:[1,0,0]
	v_pk_fma_f32 v[124:125], v[42:43], s[18:19], v[124:125] op_sel:[0,0,1] op_sel_hi:[1,0,0] neg_lo:[0,0,1] neg_hi:[0,0,1]
	v_mov_b32_e32 v128, v126
	v_mov_b32_e32 v129, v125
	v_pk_add_f32 v[128:129], v[16:17], v[128:129]
	v_mov_b32_e32 v135, v131
	v_pk_add_f32 v[128:129], v[134:135], v[128:129]
	v_pk_mul_f32 v[134:135], v[54:55], s[22:23] op_sel_hi:[1,0]
	v_pk_mul_f32 v[44:45], v[44:45], s[26:27] op_sel_hi:[1,0]
	v_pk_fma_f32 v[136:137], v[52:53], s[6:7], v[134:135] op_sel:[0,0,1] op_sel_hi:[1,0,0]
	v_pk_fma_f32 v[134:135], v[52:53], s[6:7], v[134:135] op_sel:[0,0,1] op_sel_hi:[1,0,0] neg_lo:[0,0,1] neg_hi:[0,0,1]
	v_mov_b32_e32 v138, v136
	v_mov_b32_e32 v139, v135
	v_pk_add_f32 v[128:129], v[138:139], v[128:129]
	v_pk_mul_f32 v[138:139], v[48:49], s[30:31] op_sel_hi:[1,0]
	v_pk_mul_f32 v[50:51], v[50:51], s[34:35] op_sel_hi:[1,0]
	v_pk_fma_f32 v[140:141], v[56:57], s[24:25], v[138:139] op_sel:[0,0,1] op_sel_hi:[1,0,0]
	v_pk_fma_f32 v[138:139], v[56:57], s[24:25], v[138:139] op_sel:[0,0,1] op_sel_hi:[1,0,0] neg_lo:[0,0,1] neg_hi:[0,0,1]
	v_mov_b32_e32 v142, v140
	;; [unrolled: 7-line block ×3, first 2 shown]
	v_mov_b32_e32 v147, v143
	v_pk_add_f32 v[128:129], v[146:147], v[128:129]
	v_pk_mul_f32 v[146:147], v[64:65], s[16:17] op_sel_hi:[1,0]
	v_mov_b32_e32 v125, v127
	v_pk_fma_f32 v[148:149], v[62:63], s[14:15], v[146:147] op_sel:[0,0,1] op_sel_hi:[1,0,0]
	v_pk_fma_f32 v[146:147], v[62:63], s[14:15], v[146:147] op_sel:[0,0,1] op_sel_hi:[1,0,0] neg_lo:[0,0,1] neg_hi:[0,0,1]
	v_mov_b32_e32 v150, v148
	v_mov_b32_e32 v151, v147
	v_pk_add_f32 v[128:129], v[150:151], v[128:129]
	ds_write2_b64 v221, v[102:103], v[128:129] offset0:68 offset1:85
	v_pk_fma_f32 v[102:103], v[42:43], s[24:25], v[44:45] op_sel:[0,0,1] op_sel_hi:[1,0,0]
	v_pk_fma_f32 v[42:43], v[42:43], s[24:25], v[44:45] op_sel:[0,0,1] op_sel_hi:[1,0,0] neg_lo:[0,0,1] neg_hi:[0,0,1]
	v_mov_b32_e32 v44, v102
	v_mov_b32_e32 v45, v43
	v_pk_fma_f32 v[128:129], v[46:47], s[4:5], v[50:51] op_sel:[0,0,1] op_sel_hi:[1,0,0]
	v_pk_fma_f32 v[46:47], v[46:47], s[4:5], v[50:51] op_sel:[0,0,1] op_sel_hi:[1,0,0] neg_lo:[0,0,1] neg_hi:[0,0,1]
	v_pk_add_f32 v[44:45], v[16:17], v[44:45]
	v_mov_b32_e32 v50, v128
	v_mov_b32_e32 v51, v47
	v_pk_add_f32 v[44:45], v[50:51], v[44:45]
	v_pk_mul_f32 v[50:51], v[54:55], s[20:21] op_sel_hi:[1,0]
	v_mov_b32_e32 v43, v103
	v_pk_fma_f32 v[54:55], v[52:53], s[18:19], v[50:51] op_sel:[0,0,1] op_sel_hi:[1,0,0]
	v_pk_fma_f32 v[50:51], v[52:53], s[18:19], v[50:51] op_sel:[0,0,1] op_sel_hi:[1,0,0] neg_lo:[0,0,1] neg_hi:[0,0,1]
	v_mov_b32_e32 v52, v54
	v_mov_b32_e32 v53, v51
	v_pk_add_f32 v[44:45], v[52:53], v[44:45]
	v_pk_fma_f32 v[52:53], v[56:57], s[6:7], v[48:49] op_sel:[0,0,1] op_sel_hi:[1,0,0]
	v_pk_fma_f32 v[48:49], v[56:57], s[6:7], v[48:49] op_sel:[0,0,1] op_sel_hi:[1,0,0] neg_lo:[0,0,1] neg_hi:[0,0,1]
	v_mov_b32_e32 v56, v52
	v_mov_b32_e32 v57, v49
	v_pk_add_f32 v[44:45], v[56:57], v[44:45]
	v_pk_mul_f32 v[56:57], v[60:61], s[16:17] op_sel_hi:[1,0]
	v_pk_add_f32 v[42:43], v[16:17], v[42:43]
	v_pk_fma_f32 v[60:61], v[58:59], s[14:15], v[56:57] op_sel:[0,0,1] op_sel_hi:[1,0,0]
	v_pk_fma_f32 v[56:57], v[58:59], s[14:15], v[56:57] op_sel:[0,0,1] op_sel_hi:[1,0,0] neg_lo:[0,0,1] neg_hi:[0,0,1]
	v_mov_b32_e32 v47, v129
	v_mov_b32_e32 v58, v60
	;; [unrolled: 1-line block ×3, first 2 shown]
	v_pk_add_f32 v[42:43], v[46:47], v[42:43]
	v_mov_b32_e32 v51, v55
	v_pk_add_f32 v[44:45], v[58:59], v[44:45]
	v_pk_mul_f32 v[58:59], v[64:65], s[28:29] op_sel_hi:[1,0]
	v_pk_add_f32 v[42:43], v[50:51], v[42:43]
	v_mov_b32_e32 v49, v53
	v_pk_fma_f32 v[64:65], v[62:63], s[10:11], v[58:59] op_sel:[0,0,1] op_sel_hi:[1,0,0]
	v_pk_fma_f32 v[58:59], v[62:63], s[10:11], v[58:59] op_sel:[0,0,1] op_sel_hi:[1,0,0] neg_lo:[0,0,1] neg_hi:[0,0,1]
	v_pk_add_f32 v[42:43], v[48:49], v[42:43]
	v_mov_b32_e32 v57, v61
	v_mov_b32_e32 v62, v64
	;; [unrolled: 1-line block ×3, first 2 shown]
	v_pk_add_f32 v[42:43], v[56:57], v[42:43]
	v_mov_b32_e32 v59, v65
	v_pk_add_f32 v[44:45], v[62:63], v[44:45]
	v_pk_add_f32 v[42:43], v[58:59], v[42:43]
	v_mov_b32_e32 v67, v81
	ds_write2_b64 v221, v[44:45], v[42:43] offset0:102 offset1:119
	v_pk_add_f32 v[42:43], v[16:17], v[124:125]
	v_mov_b32_e32 v131, v133
	v_pk_add_f32 v[44:45], v[16:17], v[66:67]
	v_mov_b32_e32 v105, v107
	;; [unrolled: 2-line block ×10, first 2 shown]
	v_pk_add_f32 v[42:43], v[146:147], v[42:43]
	v_pk_add_f32 v[44:45], v[120:121], v[44:45]
	v_mov_b32_e32 v77, v79
	v_mov_b32_e32 v29, v27
	;; [unrolled: 1-line block ×3, first 2 shown]
	ds_write2_b64 v221, v[42:43], v[44:45] offset0:136 offset1:153
	v_pk_add_f32 v[42:43], v[16:17], v[76:77]
	v_mov_b32_e32 v83, v85
	v_pk_add_f32 v[26:27], v[16:17], v[28:29]
	v_mov_b32_e32 v33, v31
	;; [unrolled: 2-line block ×15, first 2 shown]
	v_pk_add_f32 v[42:43], v[98:99], v[42:43]
	v_pk_add_f32 v[26:27], v[72:73], v[26:27]
	;; [unrolled: 1-line block ×3, first 2 shown]
	ds_write2_b64 v221, v[42:43], v[26:27] offset0:170 offset1:187
	ds_write_b64 v221, v[0:1] offset:1632
	s_waitcnt lgkmcnt(0)
	s_barrier
	s_and_b64 exec, exec, vcc
	s_cbranch_execz .LBB0_15
; %bb.14:
	global_load_dwordx2 v[2:3], v220, s[8:9]
	ds_read_b64 v[6:7], v221
	v_mad_u64_u32 v[4:5], s[4:5], s2, v212, 0
	v_mov_b32_e32 v10, v5
	v_mad_u64_u32 v[10:11], s[2:3], s3, v212, v[10:11]
	v_mov_b32_e32 v0, s12
	v_mov_b32_e32 v1, s13
	;; [unrolled: 1-line block ×3, first 2 shown]
	v_mad_u64_u32 v[8:9], s[6:7], s0, v210, 0
	v_lshl_add_u64 v[0:1], v[4:5], 3, v[0:1]
	s_mov_b32 s4, 0x1288b013
	v_mov_b32_e32 v12, v9
	s_mov_b32 s5, 0x3f7288b0
	v_mad_u64_u32 v[12:13], s[2:3], s1, v210, v[12:13]
	v_mov_b32_e32 v9, v12
	v_lshl_add_u64 v[8:9], v[8:9], 3, v[0:1]
	v_mov_b32_e32 v10, 0x68
	s_mul_i32 s2, s1, 0x68
	s_waitcnt vmcnt(0) lgkmcnt(0)
	v_mul_f32_e32 v4, v7, v3
	v_mul_f32_e32 v3, v6, v3
	v_fmac_f32_e32 v4, v6, v2
	v_fma_f32 v5, v2, v7, -v3
	v_cvt_f64_f32_e32 v[2:3], v4
	v_cvt_f64_f32_e32 v[4:5], v5
	v_mul_f64 v[2:3], v[2:3], s[4:5]
	v_mul_f64 v[4:5], v[4:5], s[4:5]
	v_cvt_f32_f64_e32 v2, v[2:3]
	v_cvt_f32_f64_e32 v3, v[4:5]
	global_store_dwordx2 v[8:9], v[2:3], off
	global_load_dwordx2 v[6:7], v220, s[8:9] offset:104
	ds_read2_b64 v[2:5], v221 offset0:13 offset1:26
	v_mad_u64_u32 v[8:9], s[6:7], s0, v10, v[8:9]
	v_add_u32_e32 v9, s2, v9
	s_waitcnt vmcnt(0) lgkmcnt(0)
	v_mul_f32_e32 v11, v3, v7
	v_mul_f32_e32 v7, v2, v7
	v_fmac_f32_e32 v11, v2, v6
	v_fma_f32 v6, v6, v3, -v7
	v_cvt_f64_f32_e32 v[2:3], v11
	v_cvt_f64_f32_e32 v[6:7], v6
	v_mul_f64 v[2:3], v[2:3], s[4:5]
	v_mul_f64 v[6:7], v[6:7], s[4:5]
	v_cvt_f32_f64_e32 v2, v[2:3]
	v_cvt_f32_f64_e32 v3, v[6:7]
	global_store_dwordx2 v[8:9], v[2:3], off
	global_load_dwordx2 v[2:3], v220, s[8:9] offset:208
	v_mad_u64_u32 v[6:7], s[6:7], s0, v10, v[8:9]
	v_add_u32_e32 v7, s2, v7
	s_waitcnt vmcnt(0)
	v_mul_f32_e32 v8, v5, v3
	v_mul_f32_e32 v3, v4, v3
	v_fmac_f32_e32 v8, v4, v2
	v_fma_f32 v4, v2, v5, -v3
	v_cvt_f64_f32_e32 v[2:3], v8
	v_cvt_f64_f32_e32 v[4:5], v4
	v_mul_f64 v[2:3], v[2:3], s[4:5]
	v_mul_f64 v[4:5], v[4:5], s[4:5]
	v_cvt_f32_f64_e32 v2, v[2:3]
	v_cvt_f32_f64_e32 v3, v[4:5]
	global_store_dwordx2 v[6:7], v[2:3], off
	global_load_dwordx2 v[8:9], v220, s[8:9] offset:312
	ds_read2_b64 v[2:5], v221 offset0:39 offset1:52
	v_mad_u64_u32 v[6:7], s[6:7], s0, v10, v[6:7]
	v_add_u32_e32 v7, s2, v7
	s_waitcnt vmcnt(0) lgkmcnt(0)
	v_mul_f32_e32 v11, v3, v9
	v_mul_f32_e32 v9, v2, v9
	v_fmac_f32_e32 v11, v2, v8
	v_fma_f32 v8, v8, v3, -v9
	v_cvt_f64_f32_e32 v[2:3], v11
	v_cvt_f64_f32_e32 v[8:9], v8
	v_mul_f64 v[2:3], v[2:3], s[4:5]
	v_mul_f64 v[8:9], v[8:9], s[4:5]
	v_cvt_f32_f64_e32 v2, v[2:3]
	v_cvt_f32_f64_e32 v3, v[8:9]
	global_store_dwordx2 v[6:7], v[2:3], off
	global_load_dwordx2 v[2:3], v220, s[8:9] offset:416
	v_mad_u64_u32 v[6:7], s[6:7], s0, v10, v[6:7]
	v_add_u32_e32 v7, s2, v7
	s_waitcnt vmcnt(0)
	;; [unrolled: 31-line block ×7, first 2 shown]
	v_mul_f32_e32 v8, v5, v3
	v_mul_f32_e32 v3, v4, v3
	v_fmac_f32_e32 v8, v4, v2
	v_fma_f32 v4, v2, v5, -v3
	v_cvt_f64_f32_e32 v[2:3], v8
	v_cvt_f64_f32_e32 v[4:5], v4
	v_mul_f64 v[2:3], v[2:3], s[4:5]
	v_mul_f64 v[4:5], v[4:5], s[4:5]
	v_cvt_f32_f64_e32 v2, v[2:3]
	v_cvt_f32_f64_e32 v3, v[4:5]
	global_store_dwordx2 v[6:7], v[2:3], off
	global_load_dwordx2 v[8:9], v220, s[8:9] offset:1560
	ds_read2_b64 v[2:5], v221 offset0:195 offset1:208
	v_mad_u64_u32 v[6:7], s[6:7], s0, v10, v[6:7]
	v_add_u32_e32 v7, s2, v7
	s_waitcnt vmcnt(0) lgkmcnt(0)
	v_mul_f32_e32 v10, v3, v9
	v_mul_f32_e32 v9, v2, v9
	v_fmac_f32_e32 v10, v2, v8
	v_fma_f32 v8, v8, v3, -v9
	v_cvt_f64_f32_e32 v[2:3], v10
	v_cvt_f64_f32_e32 v[8:9], v8
	v_mul_f64 v[2:3], v[2:3], s[4:5]
	v_mul_f64 v[8:9], v[8:9], s[4:5]
	v_cvt_f32_f64_e32 v2, v[2:3]
	v_cvt_f32_f64_e32 v3, v[8:9]
	global_store_dwordx2 v[6:7], v[2:3], off
	global_load_dwordx2 v[2:3], v220, s[8:9] offset:1664
	v_or_b32_e32 v9, 0xd0, v210
	v_mad_u64_u32 v[6:7], s[2:3], s0, v9, 0
	v_mov_b32_e32 v8, v7
	v_mad_u64_u32 v[8:9], s[0:1], s1, v9, v[8:9]
	v_mov_b32_e32 v7, v8
	v_lshl_add_u64 v[0:1], v[6:7], 3, v[0:1]
	s_waitcnt vmcnt(0)
	v_mul_f32_e32 v8, v5, v3
	v_mul_f32_e32 v3, v4, v3
	v_fmac_f32_e32 v8, v4, v2
	v_fma_f32 v4, v2, v5, -v3
	v_cvt_f64_f32_e32 v[2:3], v8
	v_cvt_f64_f32_e32 v[4:5], v4
	v_mul_f64 v[2:3], v[2:3], s[4:5]
	v_mul_f64 v[4:5], v[4:5], s[4:5]
	v_cvt_f32_f64_e32 v2, v[2:3]
	v_cvt_f32_f64_e32 v3, v[4:5]
	global_store_dwordx2 v[0:1], v[2:3], off
.LBB0_15:
	s_endpgm
	.section	.rodata,"a",@progbits
	.p2align	6, 0x0
	.amdhsa_kernel bluestein_single_back_len221_dim1_sp_op_CI_CI
		.amdhsa_group_segment_fixed_size 12376
		.amdhsa_private_segment_fixed_size 0
		.amdhsa_kernarg_size 104
		.amdhsa_user_sgpr_count 2
		.amdhsa_user_sgpr_dispatch_ptr 0
		.amdhsa_user_sgpr_queue_ptr 0
		.amdhsa_user_sgpr_kernarg_segment_ptr 1
		.amdhsa_user_sgpr_dispatch_id 0
		.amdhsa_user_sgpr_kernarg_preload_length 0
		.amdhsa_user_sgpr_kernarg_preload_offset 0
		.amdhsa_user_sgpr_private_segment_size 0
		.amdhsa_uses_dynamic_stack 0
		.amdhsa_enable_private_segment 0
		.amdhsa_system_sgpr_workgroup_id_x 1
		.amdhsa_system_sgpr_workgroup_id_y 0
		.amdhsa_system_sgpr_workgroup_id_z 0
		.amdhsa_system_sgpr_workgroup_info 0
		.amdhsa_system_vgpr_workitem_id 0
		.amdhsa_next_free_vgpr 278
		.amdhsa_next_free_sgpr 56
		.amdhsa_accum_offset 256
		.amdhsa_reserve_vcc 1
		.amdhsa_float_round_mode_32 0
		.amdhsa_float_round_mode_16_64 0
		.amdhsa_float_denorm_mode_32 3
		.amdhsa_float_denorm_mode_16_64 3
		.amdhsa_dx10_clamp 1
		.amdhsa_ieee_mode 1
		.amdhsa_fp16_overflow 0
		.amdhsa_tg_split 0
		.amdhsa_exception_fp_ieee_invalid_op 0
		.amdhsa_exception_fp_denorm_src 0
		.amdhsa_exception_fp_ieee_div_zero 0
		.amdhsa_exception_fp_ieee_overflow 0
		.amdhsa_exception_fp_ieee_underflow 0
		.amdhsa_exception_fp_ieee_inexact 0
		.amdhsa_exception_int_div_zero 0
	.end_amdhsa_kernel
	.text
.Lfunc_end0:
	.size	bluestein_single_back_len221_dim1_sp_op_CI_CI, .Lfunc_end0-bluestein_single_back_len221_dim1_sp_op_CI_CI
                                        ; -- End function
	.section	.AMDGPU.csdata,"",@progbits
; Kernel info:
; codeLenInByte = 18132
; NumSgprs: 62
; NumVgprs: 256
; NumAgprs: 22
; TotalNumVgprs: 278
; ScratchSize: 0
; MemoryBound: 0
; FloatMode: 240
; IeeeMode: 1
; LDSByteSize: 12376 bytes/workgroup (compile time only)
; SGPRBlocks: 7
; VGPRBlocks: 34
; NumSGPRsForWavesPerEU: 62
; NumVGPRsForWavesPerEU: 278
; AccumOffset: 256
; Occupancy: 1
; WaveLimiterHint : 1
; COMPUTE_PGM_RSRC2:SCRATCH_EN: 0
; COMPUTE_PGM_RSRC2:USER_SGPR: 2
; COMPUTE_PGM_RSRC2:TRAP_HANDLER: 0
; COMPUTE_PGM_RSRC2:TGID_X_EN: 1
; COMPUTE_PGM_RSRC2:TGID_Y_EN: 0
; COMPUTE_PGM_RSRC2:TGID_Z_EN: 0
; COMPUTE_PGM_RSRC2:TIDIG_COMP_CNT: 0
; COMPUTE_PGM_RSRC3_GFX90A:ACCUM_OFFSET: 63
; COMPUTE_PGM_RSRC3_GFX90A:TG_SPLIT: 0
	.text
	.p2alignl 6, 3212836864
	.fill 256, 4, 3212836864
	.type	__hip_cuid_d21edfa2c1e66ed3,@object ; @__hip_cuid_d21edfa2c1e66ed3
	.section	.bss,"aw",@nobits
	.globl	__hip_cuid_d21edfa2c1e66ed3
__hip_cuid_d21edfa2c1e66ed3:
	.byte	0                               ; 0x0
	.size	__hip_cuid_d21edfa2c1e66ed3, 1

	.ident	"AMD clang version 19.0.0git (https://github.com/RadeonOpenCompute/llvm-project roc-6.4.0 25133 c7fe45cf4b819c5991fe208aaa96edf142730f1d)"
	.section	".note.GNU-stack","",@progbits
	.addrsig
	.addrsig_sym __hip_cuid_d21edfa2c1e66ed3
	.amdgpu_metadata
---
amdhsa.kernels:
  - .agpr_count:     22
    .args:
      - .actual_access:  read_only
        .address_space:  global
        .offset:         0
        .size:           8
        .value_kind:     global_buffer
      - .actual_access:  read_only
        .address_space:  global
        .offset:         8
        .size:           8
        .value_kind:     global_buffer
      - .actual_access:  read_only
        .address_space:  global
        .offset:         16
        .size:           8
        .value_kind:     global_buffer
      - .actual_access:  read_only
        .address_space:  global
        .offset:         24
        .size:           8
        .value_kind:     global_buffer
      - .actual_access:  read_only
        .address_space:  global
        .offset:         32
        .size:           8
        .value_kind:     global_buffer
      - .offset:         40
        .size:           8
        .value_kind:     by_value
      - .address_space:  global
        .offset:         48
        .size:           8
        .value_kind:     global_buffer
      - .address_space:  global
        .offset:         56
        .size:           8
        .value_kind:     global_buffer
      - .address_space:  global
        .offset:         64
        .size:           8
        .value_kind:     global_buffer
      - .address_space:  global
        .offset:         72
        .size:           8
        .value_kind:     global_buffer
      - .offset:         80
        .size:           4
        .value_kind:     by_value
      - .address_space:  global
        .offset:         88
        .size:           8
        .value_kind:     global_buffer
      - .address_space:  global
        .offset:         96
        .size:           8
        .value_kind:     global_buffer
    .group_segment_fixed_size: 12376
    .kernarg_segment_align: 8
    .kernarg_segment_size: 104
    .language:       OpenCL C
    .language_version:
      - 2
      - 0
    .max_flat_workgroup_size: 119
    .name:           bluestein_single_back_len221_dim1_sp_op_CI_CI
    .private_segment_fixed_size: 0
    .sgpr_count:     62
    .sgpr_spill_count: 0
    .symbol:         bluestein_single_back_len221_dim1_sp_op_CI_CI.kd
    .uniform_work_group_size: 1
    .uses_dynamic_stack: false
    .vgpr_count:     278
    .vgpr_spill_count: 0
    .wavefront_size: 64
amdhsa.target:   amdgcn-amd-amdhsa--gfx950
amdhsa.version:
  - 1
  - 2
...

	.end_amdgpu_metadata
